;; amdgpu-corpus repo=ROCm/aiter kind=harvested arch=n/a opt=n/a

/root/src/amdgpu-assembly/repos/ROCm__aiter/hsa/gfx950/pa/pa_fp16_pertokenFp8_gqa8_1tg_4w_mtp_msk1.co:	file format elf64-amdgpu

Disassembly of section .text:

0000000000002200 <_ZN5aiter40pa_fp16_pertokenFp8_gqa8_1tg_4w_mtp_msk1E>:
	s_and_b32 s1, s1, 0xffff                                   // 000000002200: 8601FF01 0000FFFF
	s_load_dwordx2 s[8:9], s[0:1], 0x0                         // 000000002208: C0060200 00000000
	s_load_dwordx2 s[12:13], s[0:1], 0x10                      // 000000002210: C0060300 00000010
	s_load_dwordx2 s[16:17], s[0:1], 0x20                      // 000000002218: C0060400 00000020
	s_load_dwordx2 s[20:21], s[0:1], 0x30                      // 000000002220: C0060500 00000030
	s_load_dwordx2 s[24:25], s[0:1], 0x40                      // 000000002228: C0060600 00000040
	s_load_dwordx2 s[28:29], s[0:1], 0x50                      // 000000002230: C0060700 00000050
	s_load_dwordx2 s[32:33], s[0:1], 0x60                      // 000000002238: C0060800 00000060
	s_load_dwordx2 s[36:37], s[0:1], 0x70                      // 000000002240: C0060900 00000070
	s_load_dword s64, s[0:1], 0x80                             // 000000002248: C0021000 00000080
	s_load_dword s65, s[0:1], 0x90                             // 000000002250: C0021040 00000090
	s_load_dword s66, s[0:1], 0xa0                             // 000000002258: C0021080 000000A0
	s_load_dword s74, s[0:1], 0xb0                             // 000000002260: C0021280 000000B0
	s_load_dword s68, s[0:1], 0xc0                             // 000000002268: C0021100 000000C0
	s_load_dword s69, s[0:1], 0xd0                             // 000000002270: C0021140 000000D0
	s_load_dword s77, s[0:1], 0xe0                             // 000000002278: C0021340 000000E0
	s_load_dwordx2 s[80:81], s[0:1], 0xf0                      // 000000002280: C0061400 000000F0
	v_lshrrev_b32_e32 v1, 10, v0                               // 000000002288: 2002008A
	v_lshrrev_b32_e32 v2, 10, v1                               // 00000000228C: 2004028A
	v_and_b32_e32 v2, 0x3ff, v2                                // 000000002290: 260404FF 000003FF
	v_and_b32_e32 v1, 0x3ff, v1                                // 000000002298: 260202FF 000003FF
	v_and_b32_e32 v0, 0x3ff, v0                                // 0000000022A0: 260000FF 000003FF
	v_lshrrev_b32_e32 v3, 6, v0                                // 0000000022A8: 20060086
	v_and_b32_e32 v0, 63, v0                                   // 0000000022AC: 260000BF
	s_mov_b32 s2, s2                                           // 0000000022B0: BE820002
	s_mov_b32 s3, s3                                           // 0000000022B4: BE830003
	s_mov_b32 s4, s4                                           // 0000000022B8: BE840004
	v_readfirstlane_b32 s7, v3                                 // 0000000022BC: 7E0E0503
	s_waitcnt lgkmcnt(0)                                       // 0000000022C0: BF8CC07F
	s_mul_i32 s67, 0x100, s77                                  // 0000000022C4: 92434DFF 00000100
	s_mul_i32 s76, 0x100, s77                                  // 0000000022CC: 924C4DFF 00000100
	s_mul_i32 s75, s66, s76                                    // 0000000022D4: 924B4C42
	s_mul_i32 s60, s3, 4                                       // 0000000022D8: 923C8403
	s_and_b32 s29, s29, 0xffff                                 // 0000000022DC: 861DFF1D 0000FFFF
	s_add_u32 s28, s60, s28                                    // 0000000022E4: 801C1C3C
	s_addc_u32 s29, 0, s29                                     // 0000000022E8: 821D1D80
	s_load_dword s72, s[28:29], 0x0                            // 0000000022EC: C002120E 00000000
	s_mul_i32 s60, s3, 4                                       // 0000000022F4: 923C8403
	s_and_b32 s81, s81, 0xffff                                 // 0000000022F8: 8651FF51 0000FFFF
	s_add_u32 s80, s60, s80                                    // 000000002300: 8050503C
	s_addc_u32 s81, 0, s81                                     // 000000002304: 82515180
	s_load_dword s84, s[80:81], 0x0                            // 000000002308: C0021528 00000000
	s_load_dword s85, s[80:81], 0x4                            // 000000002310: C0021568 00000004
	s_mov_b32 s10, s76                                         // 000000002318: BE8A004C
	s_mov_b32 s14, s67                                         // 00000000231C: BE8E0043
	s_mul_i32 s60, 4, s65                                      // 000000002320: 923C4184
	s_mov_b32 s26, s60                                         // 000000002324: BE9A003C
	s_mov_b32 s34, 0x80000000                                  // 000000002328: BEA200FF 80000000
	s_mov_b32 s38, 0x80000000                                  // 000000002330: BEA600FF 80000000
	s_mov_b32 s18, 0x80000000                                  // 000000002338: BE9200FF 80000000
	s_mov_b32 s22, 0x80000000                                  // 000000002340: BE9600FF 80000000
	s_mov_b32 s11, 0x20000                                     // 000000002348: BE8B00FF 00020000
	s_mov_b32 s15, 0x20000                                     // 000000002350: BE8F00FF 00020000
	s_mov_b32 s19, 0x20000                                     // 000000002358: BE9300FF 00020000
	s_mov_b32 s23, 0x20000                                     // 000000002360: BE9700FF 00020000
	s_mov_b32 s27, 0x20000                                     // 000000002368: BE9B00FF 00020000
	s_mov_b32 s35, 0x20000                                     // 000000002370: BEA300FF 00020000
	s_mov_b32 s39, 0x20000                                     // 000000002378: BEA700FF 00020000
	s_and_b32 s9, s9, 0xffff                                   // 000000002380: 8609FF09 0000FFFF
	s_and_b32 s13, s13, 0xffff                                 // 000000002388: 860DFF0D 0000FFFF
	s_and_b32 s17, s17, 0xffff                                 // 000000002390: 8611FF11 0000FFFF
	s_and_b32 s21, s21, 0xffff                                 // 000000002398: 8615FF15 0000FFFF
	s_and_b32 s25, s25, 0xffff                                 // 0000000023A0: 8619FF19 0000FFFF
	s_and_b32 s33, s33, 0xffff                                 // 0000000023A8: 8621FF21 0000FFFF
	s_and_b32 s37, s37, 0xffff                                 // 0000000023B0: 8625FF25 0000FFFF
	s_or_b32 s9, s9, 0x40000                                   // 0000000023B8: 8709FF09 00040000
	s_or_b32 s13, s13, 0x40000                                 // 0000000023C0: 870DFF0D 00040000
	s_or_b32 s17, s17, 0x40000                                 // 0000000023C8: 8711FF11 00040000
	s_or_b32 s21, s21, 0x40000                                 // 0000000023D0: 8715FF15 00040000
	s_or_b32 s25, s25, 0x40000                                 // 0000000023D8: 8719FF19 00040000
	s_or_b32 s33, s33, 0x40000                                 // 0000000023E0: 8721FF21 00040000
	s_or_b32 s37, s37, 0x40000                                 // 0000000023E8: 8725FF25 00040000
	v_accvgpr_write_b32 a127, 0                                // 0000000023F0: D3D9407F 18000080
	v_mov_b32_e32 v255, 0                                      // 0000000023F8: 7FFE0280
	s_mov_b32 s88, 0                                           // 0000000023FC: BED80080
	s_waitcnt lgkmcnt(0)                                       // 000000002400: BF8CC07F
	s_sub_u32 s86, s85, s84                                    // 000000002404: 80D65455
	s_mov_b32 s60, 2                                           // 000000002408: BEBC0082
	s_cmp_eq_i32 s60, s86                                      // 00000000240C: BF00563C
	s_cbranch_scc1 label_0DC5                                  // 000000002410: BF850D40
	s_mov_b32 s60, 3                                           // 000000002414: BEBC0083
	s_cmp_eq_i32 s60, s86                                      // 000000002418: BF00563C
	s_cbranch_scc1 label_20E7                                  // 00000000241C: BF85205F
	s_mov_b32 s60, 4                                           // 000000002420: BEBC0084
	s_cmp_eq_i32 s60, s86                                      // 000000002424: BF00563C
	s_cbranch_scc1 label_20E9                                  // 000000002428: BF85205E
	s_mul_i32 s60, s3, s65                                     // 00000000242C: 923C4103
	s_mul_i32 s60, s60, 4                                      // 000000002430: 923C843C
	s_add_u32 s24, s60, s24                                    // 000000002434: 8018183C
	s_addc_u32 s25, 0, s25                                     // 000000002438: 82191980
	s_mov_b32 s56, 64                                          // 00000000243C: BEB800C0
	s_add_u32 s73, s72, 15                                     // 000000002440: 80498F48
	s_lshr_b32 s73, s73, 4                                     // 000000002444: 8F498449
	s_mul_i32 s60, s73, 4                                      // 000000002448: 923C8449
	s_mov_b32 s26, s60                                         // 00000000244C: BE9A003C
	v_and_b32_e32 v42, 3, v0                                   // 000000002450: 26540083
	v_cmp_eq_u32_e64 s[60:61], 0, v42                          // 000000002454: D0CA003C 00025480
	v_and_b32_e32 v41, 12, v0                                  // 00000000245C: 2652008C
	v_add_u32_e32 v1, s7, v41                                  // 000000002460: 68025207
	v_cndmask_b32_e64 v1, 0, v1, s[60:61]                      // 000000002464: D1000001 00F20280
	v_and_b32_e32 v42, 3, v0                                   // 00000000246C: 26540083
	v_cmp_eq_u32_e64 s[60:61], 1, v42                          // 000000002470: D0CA003C 00025481
	v_lshrrev_b32_e32 v41, 4, v0                               // 000000002478: 20520084
	v_and_b32_e32 v42, 12, v0                                  // 00000000247C: 2654008C
	v_add_u32_e32 v41, v42, v41                                // 000000002480: 6852532A
	v_cndmask_b32_e64 v41, 0, v41, s[60:61]                    // 000000002484: D1000029 00F25280
	v_add_u32_e32 v1, v1, v41                                  // 00000000248C: 68025301
	v_lshlrev_b32_e32 v1, 2, v1                                // 000000002490: 24020282
	buffer_load_dword v19, v1, s[24:27], 0 offen               // 000000002494: E0501000 80061301
	v_add_u32_e32 v1, s56, v1                                  // 00000000249C: 68020238
	buffer_load_dword v20, v1, s[24:27], 0 offen               // 0000000024A0: E0501000 80061401
	s_cmp_le_u32 s73, 32                                       // 0000000024A8: BF0BA049
	s_cselect_b32 s56, 0, s56                                  // 0000000024AC: 85383880
	s_mul_i32 s60, s2, s67                                     // 0000000024B0: 923C4302
	s_mul_i32 s61, s84, s74                                    // 0000000024B4: 923D4A54
	s_add_u32 s60, s60, s61                                    // 0000000024B8: 803C3D3C
	s_add_u32 s12, s60, s12                                    // 0000000024BC: 800C0C3C
	s_addc_u32 s13, 0, s13                                     // 0000000024C0: 820D0D80
	s_mul_i32 s60, s7, 0x108                                   // 0000000024C4: 923CFF07 00000108
	s_add_u32 m0, 0, s60                                       // 0000000024CC: 807C3C80
	s_mul_i32 s60, s7, 0x100                                   // 0000000024D0: 923CFF07 00000100
	v_lshlrev_b32_e32 v41, 2, v0                               // 0000000024D8: 24520082
	v_add_u32_e64 v41, v41, s60                                // 0000000024DC: D1340029 00007929
	buffer_load_dword v41, s[12:15], 0 offen lds               // 0000000024E4: E0511000 80030029
	s_mul_i32 s60, 4, 0x108                                    // 0000000024EC: 923CFF84 00000108
	s_add_u32 m0, m0, s60                                      // 0000000024F4: 807C3C7C
	v_add_u32_e32 v41, 0x400, v41                              // 0000000024F8: 685252FF 00000400
	buffer_load_dword v41, s[12:15], 0 offen lds               // 000000002500: E0511000 80030029
	s_mul_i32 s60, 4, 0x108                                    // 000000002508: 923CFF84 00000108
	s_add_u32 m0, m0, s60                                      // 000000002510: 807C3C7C
	v_add_u32_e32 v41, 0x400, v41                              // 000000002514: 685252FF 00000400
	s_mul_i32 s60, s7, 0x108                                   // 00000000251C: 923CFF07 00000108
	v_lshlrev_b32_e32 v41, 2, v0                               // 000000002524: 24520082
	v_add_u32_e64 v41, v41, s60                                // 000000002528: D1340029 00007929
	v_mov_b32_e32 v42, 0                                       // 000000002530: 7E540280
	ds_write_b32 v41, v42 offset:2112                          // 000000002534: D81A0840 00002A29
	ds_write_b32 v41, v42 offset:3168                          // 00000000253C: D81A0C60 00002A29
	v_lshrrev_b32_e32 v41, 4, v0                               // 000000002544: 20520084
	v_lshlrev_b32_e32 v41, 2, v41                              // 000000002548: 24525282
	v_and_b32_e32 v42, 3, v0                                   // 00000000254C: 26540083
	v_add_u32_e32 v41, v42, v41                                // 000000002550: 6852532A
	v_lshlrev_b32_e32 v74, 2, v41                              // 000000002554: 24945282
	v_mov_b32_e32 v75, v74                                     // 000000002558: 7E96034A
	s_mul_i32 s60, s2, 64                                      // 00000000255C: 923CC002
	s_add_u32 s32, s60, s32                                    // 000000002560: 8020203C
	s_addc_u32 s33, 0, s33                                     // 000000002564: 82212180
	s_add_u32 s36, s60, s36                                    // 000000002568: 8024243C
	s_addc_u32 s37, 0, s37                                     // 00000000256C: 82252580
	s_mul_i32 s60, s2, s76                                     // 000000002570: 923C4C02
	s_mul_i32 s61, s84, s75                                    // 000000002574: 923D4B54
	s_add_u32 s60, s60, s61                                    // 000000002578: 803C3D3C
	s_add_u32 s8, s60, s8                                      // 00000000257C: 8008083C
	s_addc_u32 s9, 0, s9                                       // 000000002580: 82090980
	s_mul_i32 s60, s7, 0x100                                   // 000000002584: 923CFF07 00000100
	v_lshlrev_b32_e32 v8, 2, v0                                // 00000000258C: 24100082
	v_add_u32_e64 v8, v8, s60                                  // 000000002590: D1340008 00007908
	s_mov_b32 s70, 0                                           // 000000002598: BEC60080
	s_and_b32 s71, s72, 0xffffff00                             // 00000000259C: 8647FF48 FFFFFF00
	s_mov_b32 s42, 0xff00ff00                                  // 0000000025A4: BEAA00FF FF00FF00
	s_mov_b32 s43, 0xff00ff00                                  // 0000000025AC: BEAB00FF FF00FF00
	s_mov_b32 s44, 0xf0f0f0f0                                  // 0000000025B4: BEAC00FF F0F0F0F0
	s_mov_b32 s45, 0xf0f0f0f0                                  // 0000000025BC: BEAD00FF F0F0F0F0
	v_mul_i32_i24_e64 v78, 64, s66                             // 0000000025C4: D106004E 000084C0
	v_mov_b32_e32 v68, s68                                     // 0000000025CC: 7E880244
	v_mov_b32_e32 v9, -1                                       // 0000000025D0: 7E1202C1
	s_mov_b32 s52, 0x7060302                                   // 0000000025D4: BEB400FF 07060302
	s_mov_b32 s53, 0x400                                       // 0000000025DC: BEB500FF 00000400
	s_mov_b32 s54, 0x40100                                     // 0000000025E4: BEB600FF 00040100
	s_mov_b32 s55, 0x4020100                                   // 0000000025EC: BEB700FF 04020100
	v_mov_b32_dpp v9, v9 row_shl:8 row_mask:0xf bank_mask:0xf bound_ctrl:1// 0000000025F4: 7E1202FA FF090809
	s_mov_b32 s6, 0x3fb8aa3b                                   // 0000000025FC: BE8600FF 3FB8AA3B
	v_mov_b32_e32 v14, 0xff800000                              // 000000002604: 7E1C02FF FF800000
	v_mov_b32_e32 v69, 0xff800000                              // 00000000260C: 7E8A02FF FF800000
	v_mov_b32_e32 v63, 0                                       // 000000002614: 7E7E0280
	v_mov_b32_e32 v47, 0                                       // 000000002618: 7E5E0280
	v_mov_b32_e32 v58, 0                                       // 00000000261C: 7E740280
	v_mov_b32_e32 v22, 0xffff0000                              // 000000002620: 7E2C02FF FFFF0000
	v_mov_b32_e32 v23, 0x7fff0000                              // 000000002628: 7E2E02FF 7FFF0000
	v_mov_b32_e32 v24, 0x7fff                                  // 000000002630: 7E3002FF 00007FFF
	v_add_u32_e32 v1, s56, v1                                  // 000000002638: 68020238
	v_and_b32_e32 v10, 15, v0                                  // 00000000263C: 2614008F
	v_lshlrev_b32_e32 v10, 2, v10                              // 000000002640: 24141482
	v_lshlrev_b32_e32 v11, 2, v0                               // 000000002644: 24160082
	s_mul_i32 s60, 0x100, s7                                   // 000000002648: 923C07FF 00000100
	v_add_u32_e32 v11, s60, v11                                // 000000002650: 6816163C
	v_lshrrev_b32_e32 v41, 4, v0                               // 000000002654: 20520084
	v_lshlrev_b32_e32 v42, 6, v41                              // 000000002658: 24545286
	v_and_b32_e32 v41, 15, v0                                  // 00000000265C: 2652008F
	v_lshlrev_b32_e32 v41, 1, v41                              // 000000002660: 24525281
	v_add_u32_e32 v42, v41, v42                                // 000000002664: 68545529
	v_lshlrev_b32_e32 v12, 2, v42                              // 000000002668: 24185482
	v_lshrrev_b32_e32 v41, 5, v0                               // 00000000266C: 20520085
	v_lshlrev_b32_e32 v42, 5, v41                              // 000000002670: 24545285
	v_and_b32_e32 v41, 31, v0                                  // 000000002674: 2652009F
	v_lshrrev_b32_e32 v43, 4, v41                              // 000000002678: 20565284
	v_add_u32_e32 v42, v43, v42                                // 00000000267C: 6854552B
	v_and_b32_e32 v41, 15, v0                                  // 000000002680: 2652008F
	v_lshlrev_b32_e32 v41, 1, v41                              // 000000002684: 24525281
	v_add_u32_e32 v42, v41, v42                                // 000000002688: 68545529
	v_lshlrev_b32_e32 v41, 2, v42                              // 00000000268C: 24525482
	s_mul_i32 s60, 0x100, s7                                   // 000000002690: 923C07FF 00000100
	v_add_u32_e64 v13, v41, s60                                // 000000002698: D134000D 00007929
	v_lshlrev_b32_e32 v6, 4, v0                                // 0000000026A0: 240C0084
	s_mul_i32 s60, s2, s69                                     // 0000000026A4: 923C4502
	s_add_u32 s16, s60, s16                                    // 0000000026A8: 8010103C
	s_addc_u32 s17, 0, s17                                     // 0000000026AC: 82111180
	v_and_b32_e32 v41, 15, v0                                  // 0000000026B0: 2652008F
	v_lshlrev_b32_e32 v7, 4, v41                               // 0000000026B4: 240E5284
	s_mul_i32 s61, s2, s69                                     // 0000000026B8: 923D4502
	s_mul_i32 s60, s7, 0x100                                   // 0000000026BC: 923CFF07 00000100
	s_add_u32 s60, s60, s61                                    // 0000000026C4: 803C3D3C
	s_add_u32 s20, s60, s20                                    // 0000000026C8: 8014143C
	s_addc_u32 s21, 0, s21                                     // 0000000026CC: 82151580
	s_waitcnt vmcnt(2)                                         // 0000000026D0: BF8C0F72
	v_mul_u32_u24_dpp v41, v19, v68 row_newbcast:0 row_mask:0xf bank_mask:0xf// 0000000026D4: 105288FA FF015013
	v_mul_u32_u24_dpp v42, v19, v68 row_newbcast:4 row_mask:0xf bank_mask:0xf// 0000000026DC: 105488FA FF015413
	v_mul_u32_u24_dpp v43, v19, v68 row_newbcast:8 row_mask:0xf bank_mask:0xf// 0000000026E4: 105688FA FF015813
	v_mul_u32_u24_dpp v44, v19, v68 row_newbcast:12 row_mask:0xf bank_mask:0xf// 0000000026EC: 105888FA FF015C13
	v_add_u32_e32 v25, v41, v6                                 // 0000000026F4: 68320D29
	v_add_u32_e32 v26, v42, v6                                 // 0000000026F8: 68340D2A
	v_add_u32_e32 v27, v43, v6                                 // 0000000026FC: 68360D2B
	v_add_u32_e32 v28, v44, v6                                 // 000000002700: 68380D2C
	v_mul_u32_u24_dpp v41, v19, v68 row_newbcast:1 row_mask:0xf bank_mask:0xf// 000000002704: 105288FA FF015113
	v_mul_u32_u24_dpp v42, v19, v68 row_newbcast:5 row_mask:0xf bank_mask:0xf// 00000000270C: 105488FA FF015513
	v_mul_u32_u24_dpp v43, v19, v68 row_newbcast:9 row_mask:0xf bank_mask:0xf// 000000002714: 105688FA FF015913
	v_mul_u32_u24_dpp v44, v19, v68 row_newbcast:13 row_mask:0xf bank_mask:0xf// 00000000271C: 105888FA FF015D13
	v_add_u32_e32 v33, v41, v7                                 // 000000002724: 68420F29
	v_add_u32_e32 v34, v42, v7                                 // 000000002728: 68440F2A
	v_add_u32_e32 v35, v43, v7                                 // 00000000272C: 68460F2B
	v_add_u32_e32 v36, v44, v7                                 // 000000002730: 68480F2C
	v_mul_u32_u24_dpp v41, v19, v78 quad_perm:[0,0,0,0] row_mask:0xf bank_mask:0xf// 000000002734: 10529CFA FF000013
	v_add_u32_e32 v2, v41, v74                                 // 00000000273C: 68049529
	v_mul_u32_u24_dpp v41, v19, v78 quad_perm:[0,0,0,0] row_mask:0xf bank_mask:0xf// 000000002740: 10529CFA FF000013
	v_add_u32_e32 v70, v41, v75                                // 000000002748: 688C9729
	buffer_load_dword v52, v2, s[32:35], 0 offen               // 00000000274C: E0501000 80083402
	buffer_load_dwordx4 a[0:3], v25, s[16:19], 0 offen         // 000000002754: E05C1000 80840019
	buffer_load_dwordx4 a[4:7], v25, s[16:19], 0 offen offset:1024// 00000000275C: E05C1400 80840419
	buffer_load_dwordx4 a[8:11], v26, s[16:19], 0 offen        // 000000002764: E05C1000 8084081A
	buffer_load_dwordx4 a[12:15], v26, s[16:19], 0 offen offset:1024// 00000000276C: E05C1400 80840C1A
	buffer_load_dwordx4 a[16:19], v27, s[16:19], 0 offen       // 000000002774: E05C1000 8084101B
	buffer_load_dwordx4 a[20:23], v27, s[16:19], 0 offen offset:1024// 00000000277C: E05C1400 8084141B
	buffer_load_dwordx4 a[24:27], v28, s[16:19], 0 offen       // 000000002784: E05C1000 8084181C
	buffer_load_dwordx4 a[28:31], v28, s[16:19], 0 offen offset:1024// 00000000278C: E05C1400 80841C1C
	buffer_load_dword v72, v70, s[36:39], 0 offen              // 000000002794: E0501000 80094846
	buffer_load_dwordx4 a[64:67], v33, s[20:23], 0 offen       // 00000000279C: E05C1000 80854021
	buffer_load_dwordx4 a[68:71], v34, s[20:23], 0 offen       // 0000000027A4: E05C1000 80854422
	buffer_load_dwordx4 a[72:75], v35, s[20:23], 0 offen       // 0000000027AC: E05C1000 80854823
	buffer_load_dwordx4 a[76:79], v36, s[20:23], 0 offen       // 0000000027B4: E05C1000 80854C24
	buffer_load_dwordx4 a[80:83], v33, s[20:23], 0 offen offset:1024// 0000000027BC: E05C1400 80855021
	buffer_load_dwordx4 a[84:87], v34, s[20:23], 0 offen offset:1024// 0000000027C4: E05C1400 80855422
	buffer_load_dwordx4 a[88:91], v35, s[20:23], 0 offen offset:1024// 0000000027CC: E05C1400 80855823
	buffer_load_dwordx4 a[92:95], v36, s[20:23], 0 offen offset:1024// 0000000027D4: E05C1400 80855C24
	v_lshrrev_b32_e32 v41, 4, v0                               // 0000000027DC: 20520084
	v_lshlrev_b32_e32 v42, 1, v41                              // 0000000027E0: 24545281
	v_and_b32_e32 v41, 15, v0                                  // 0000000027E4: 2652008F
	v_mul_i32_i24_e32 v41, 0x42, v41                           // 0000000027E8: 0C5252FF 00000042
	v_add_u32_e32 v42, v41, v42                                // 0000000027F0: 68545529
	v_lshlrev_b32_e32 v4, 2, v42                               // 0000000027F4: 24085482
	s_mul_i32 s60, s7, 32                                      // 0000000027F8: 923CA007
	v_add_u32_e32 v4, s60, v4                                  // 0000000027FC: 6808083C
	s_waitcnt vmcnt(16) lgkmcnt(0)                             // 000000002800: BF8C4070
	s_barrier                                                  // 000000002804: BF8A0000
	ds_read_b64 v[96:97], v4                                   // 000000002808: D8EC0000 60000004
	ds_read_b64 v[100:101], v4 offset:128                      // 000000002810: D8EC0080 64000004
	s_waitcnt lgkmcnt(0)                                       // 000000002818: BF8CC07F
	v_and_b32_e32 v41, 0xffff, v96                             // 00000000281C: 2652C0FF 0000FFFF
	v_lshrrev_b32_e32 v42, 16, v96                             // 000000002824: 2054C090
	v_and_b32_e32 v43, 0xffff, v97                             // 000000002828: 2656C2FF 0000FFFF
	v_lshrrev_b32_e32 v44, 16, v97                             // 000000002830: 2058C290
	v_cvt_f32_f16_e32 v96, v41                                 // 000000002834: 7EC01729
	v_cvt_f32_f16_e32 v97, v42                                 // 000000002838: 7EC2172A
	v_cvt_f32_f16_e32 v98, v43                                 // 00000000283C: 7EC4172B
	v_cvt_f32_f16_e32 v99, v44                                 // 000000002840: 7EC6172C
	v_and_b32_e32 v41, 0xffff, v100                            // 000000002844: 2652C8FF 0000FFFF
	v_lshrrev_b32_e32 v42, 16, v100                            // 00000000284C: 2054C890
	v_and_b32_e32 v43, 0xffff, v101                            // 000000002850: 2656CAFF 0000FFFF
	v_lshrrev_b32_e32 v44, 16, v101                            // 000000002858: 2058CA90
	v_cvt_f32_f16_e32 v100, v41                                // 00000000285C: 7EC81729
	v_cvt_f32_f16_e32 v101, v42                                // 000000002860: 7ECA172A
	v_cvt_f32_f16_e32 v102, v43                                // 000000002864: 7ECC172B
	v_cvt_f32_f16_e32 v103, v44                                // 000000002868: 7ECE172C
	v_mov_b32_e32 v62, 0x358637bd                              // 00000000286C: 7E7C02FF 358637BD
	v_max3_f32 v62, |v96|, |v97|, v62                          // 000000002874: D1D3033E 04FAC360
	v_max3_f32 v62, |v98|, |v99|, v62                          // 00000000287C: D1D3033E 04FAC762
	v_max3_f32 v62, |v100|, |v101|, v62                        // 000000002884: D1D3033E 04FACB64
	v_max3_f32 v62, |v102|, |v103|, v62                        // 00000000288C: D1D3033E 04FACF66
	ds_write_b32 v11, v62 offset:16896                         // 000000002894: D81A4200 00003E0B
	s_waitcnt lgkmcnt(0)                                       // 00000000289C: BF8CC07F
	s_barrier                                                  // 0000000028A0: BF8A0000
	ds_read_b32 v80, v10 offset:16896                          // 0000000028A4: D86C4200 5000000A
	ds_read_b32 v81, v10 offset:16960                          // 0000000028AC: D86C4240 5100000A
	ds_read_b32 v82, v10 offset:17024                          // 0000000028B4: D86C4280 5200000A
	ds_read_b32 v83, v10 offset:17088                          // 0000000028BC: D86C42C0 5300000A
	ds_read_b32 v84, v10 offset:17152                          // 0000000028C4: D86C4300 5400000A
	ds_read_b32 v85, v10 offset:17216                          // 0000000028CC: D86C4340 5500000A
	ds_read_b32 v86, v10 offset:17280                          // 0000000028D4: D86C4380 5600000A
	ds_read_b32 v87, v10 offset:17344                          // 0000000028DC: D86C43C0 5700000A
	ds_read_b32 v88, v10 offset:17408                          // 0000000028E4: D86C4400 5800000A
	ds_read_b32 v89, v10 offset:17472                          // 0000000028EC: D86C4440 5900000A
	ds_read_b32 v90, v10 offset:17536                          // 0000000028F4: D86C4480 5A00000A
	ds_read_b32 v91, v10 offset:17600                          // 0000000028FC: D86C44C0 5B00000A
	ds_read_b32 v92, v10 offset:17664                          // 000000002904: D86C4500 5C00000A
	ds_read_b32 v93, v10 offset:17728                          // 00000000290C: D86C4540 5D00000A
	ds_read_b32 v94, v10 offset:17792                          // 000000002914: D86C4580 5E00000A
	ds_read_b32 v95, v10 offset:17856                          // 00000000291C: D86C45C0 5F00000A
	s_waitcnt lgkmcnt(0)                                       // 000000002924: BF8CC07F
	v_max3_f32 v62, |v80|, |v81|, v62                          // 000000002928: D1D3033E 04FAA350
	v_max3_f32 v62, |v82|, |v83|, v62                          // 000000002930: D1D3033E 04FAA752
	v_max3_f32 v62, |v84|, |v85|, v62                          // 000000002938: D1D3033E 04FAAB54
	v_max3_f32 v62, |v86|, |v87|, v62                          // 000000002940: D1D3033E 04FAAF56
	v_max3_f32 v62, |v88|, |v89|, v62                          // 000000002948: D1D3033E 04FAB358
	v_max3_f32 v62, |v90|, |v91|, v62                          // 000000002950: D1D3033E 04FAB75A
	v_max3_f32 v62, |v92|, |v93|, v62                          // 000000002958: D1D3033E 04FABB5C
	v_max3_f32 v62, |v94|, |v95|, v62                          // 000000002960: D1D3033E 04FABF5E
	v_rcp_f32_e32 v62, v62                                     // 000000002968: 7E7C453E
	s_nop 1                                                    // 00000000296C: BF800001
	v_mul_f32_e32 v62, 0x43e00000, v62                         // 000000002970: 0A7C7CFF 43E00000
	v_mul_f32_e32 v96, v62, v96                                // 000000002978: 0AC0C13E
	v_mul_f32_e32 v97, v62, v97                                // 00000000297C: 0AC2C33E
	v_mul_f32_e32 v98, v62, v98                                // 000000002980: 0AC4C53E
	v_mul_f32_e32 v99, v62, v99                                // 000000002984: 0AC6C73E
	v_mul_f32_e32 v100, v62, v100                              // 000000002988: 0AC8C93E
	v_mul_f32_e32 v101, v62, v101                              // 00000000298C: 0ACACB3E
	v_mul_f32_e32 v102, v62, v102                              // 000000002990: 0ACCCD3E
	v_mul_f32_e32 v103, v62, v103                              // 000000002994: 0ACECF3E
	v_rcp_f32_e32 v54, v62                                     // 000000002998: 7E6C453E
	v_cvt_pk_fp8_f32 v96, v96, v97                             // 00000000299C: D2A20060 0002C360
	v_cvt_pk_fp8_f32 v96, v98, v99 op_sel:[0,0,1]              // 0000000029A4: D2A24060 0002C762
	v_cvt_pk_fp8_f32 v97, v100, v101                           // 0000000029AC: D2A20061 0002CB64
	v_cvt_pk_fp8_f32 v97, v102, v103 op_sel:[0,0,1]            // 0000000029B4: D2A24061 0002CF66
	ds_write_b32 v13, v96 offset:25088                         // 0000000029BC: D81A6200 0000600D
	ds_write_b32 v13, v97 offset:26112                         // 0000000029C4: D81A6600 0000610D
	s_waitcnt lgkmcnt(0)                                       // 0000000029CC: BF8CC07F
	s_barrier                                                  // 0000000029D0: BF8A0000
	v_and_b32_e32 v54, v9, v54                                 // 0000000029D4: 266C6D09
	ds_read_b64 v[96:97], v12 offset:25088                     // 0000000029D8: D8EC6200 6000000C
	ds_read_b64 v[98:99], v12 offset:25216                     // 0000000029E0: D8EC6280 6200000C
	ds_read_b64 v[100:101], v12 offset:26112                   // 0000000029E8: D8EC6600 6400000C
	ds_read_b64 v[102:103], v12 offset:26240                   // 0000000029F0: D8EC6680 6600000C
	v_mov_b32_e32 v224, 0                                      // 0000000029F8: 7FC00280
	v_mov_b32_e32 v225, 0                                      // 0000000029FC: 7FC20280
	v_mov_b32_e32 v226, 0                                      // 000000002A00: 7FC40280
	v_mov_b32_e32 v227, 0                                      // 000000002A04: 7FC60280
	v_mov_b32_e32 v192, 0                                      // 000000002A08: 7F800280
	v_mov_b32_e32 v193, 0                                      // 000000002A0C: 7F820280
	v_mov_b32_e32 v194, 0                                      // 000000002A10: 7F840280
	v_mov_b32_e32 v195, 0                                      // 000000002A14: 7F860280
	v_mov_b32_e32 v196, 0                                      // 000000002A18: 7F880280
	v_mov_b32_e32 v197, 0                                      // 000000002A1C: 7F8A0280
	v_mov_b32_e32 v198, 0                                      // 000000002A20: 7F8C0280
	v_mov_b32_e32 v199, 0                                      // 000000002A24: 7F8E0280
	v_or_b32_dpp v54, v54, v54 row_shr:8 row_mask:0xf bank_mask:0xf bound_ctrl:1// 000000002A28: 286C6CFA FF091836
	s_waitcnt vmcnt(8) lgkmcnt(0)                              // 000000002A30: BF8C0078
	s_barrier                                                  // 000000002A34: BF8A0000
	s_cmp_lt_u32 s73, 16                                       // 000000002A38: BF0A9049
	s_cbranch_scc1 label_097F                                  // 000000002A3C: BF85076F
	s_cmp_lt_i32 s7, 2                                         // 000000002A40: BF048207
	s_cbranch_scc0 label_05CA                                  // 000000002A44: BF8403B8

0000000000002a48 <label_0212>:
	s_waitcnt vmcnt(8) lgkmcnt(0)                              // 000000002A48: BF8C0078
	v_mul_u32_u24_dpp v41, v20, v68 row_newbcast:0 row_mask:0xf bank_mask:0xf// 000000002A4C: 105288FA FF015014
	v_mul_u32_u24_dpp v42, v20, v68 row_newbcast:4 row_mask:0xf bank_mask:0xf// 000000002A54: 105488FA FF015414
	v_mul_u32_u24_dpp v43, v20, v68 row_newbcast:8 row_mask:0xf bank_mask:0xf// 000000002A5C: 105688FA FF015814
	v_mul_u32_u24_dpp v44, v20, v68 row_newbcast:12 row_mask:0xf bank_mask:0xf// 000000002A64: 105888FA FF015C14
	v_add_u32_e32 v29, v41, v6                                 // 000000002A6C: 683A0D29
	v_add_u32_e32 v30, v42, v6                                 // 000000002A70: 683C0D2A
	v_add_u32_e32 v31, v43, v6                                 // 000000002A74: 683E0D2B
	v_add_u32_e32 v32, v44, v6                                 // 000000002A78: 68400D2C
	v_mul_u32_u24_dpp v41, v20, v78 quad_perm:[0,0,0,0] row_mask:0xf bank_mask:0xf// 000000002A7C: 10529CFA FF000014
	v_add_u32_e32 v3, v41, v74                                 // 000000002A84: 68069529
	v_mul_u32_u24_dpp v41, v20, v78 quad_perm:[0,0,0,0] row_mask:0xf bank_mask:0xf// 000000002A88: 10529CFA FF000014
	v_add_u32_e32 v71, v41, v75                                // 000000002A90: 688E9729
	v_mfma_f32_16x16x32_fp8_fp8 v[128:131], a[0:1], v[96:97], 0// 000000002A94: D3F30080 0A02C100
	v_mfma_f32_16x16x32_fp8_fp8 v[128:131], a[2:3], v[98:99], v[128:131]// 000000002A9C: D3F30080 0E02C502
	buffer_load_dwordx4 a[32:35], v29, s[16:19], 0 offen       // 000000002AA4: E05C1000 8084201D
	v_mfma_f32_16x16x32_fp8_fp8 v[128:131], a[4:5], v[100:101], v[128:131]// 000000002AAC: D3F30080 0E02C904
	v_mfma_f32_16x16x32_fp8_fp8 v[128:131], a[6:7], v[102:103], v[128:131]// 000000002AB4: D3F30080 0E02CD06
	buffer_load_dword v19, v1, s[24:27], 0 offen               // 000000002ABC: E0501000 80061301
	v_mfma_f32_16x16x32_fp8_fp8 v[132:135], a[8:9], v[96:97], 0// 000000002AC4: D3F30084 0A02C108
	v_mfma_f32_16x16x32_fp8_fp8 v[132:135], a[10:11], v[98:99], v[132:135]// 000000002ACC: D3F30084 0E12C50A
	buffer_load_dwordx4 a[36:39], v29, s[16:19], 0 offen offset:1024// 000000002AD4: E05C1400 8084241D
	v_mfma_f32_16x16x32_fp8_fp8 v[132:135], a[12:13], v[100:101], v[132:135]// 000000002ADC: D3F30084 0E12C90C
	v_mfma_f32_16x16x32_fp8_fp8 v[132:135], a[14:15], v[102:103], v[132:135]// 000000002AE4: D3F30084 0E12CD0E
	v_mfma_f32_16x16x32_fp8_fp8 v[136:139], a[16:17], v[96:97], 0// 000000002AEC: D3F30088 0A02C110
	v_mfma_f32_16x16x32_fp8_fp8 v[136:139], a[18:19], v[98:99], v[136:139]// 000000002AF4: D3F30088 0E22C512
	buffer_load_dwordx4 a[40:43], v30, s[16:19], 0 offen       // 000000002AFC: E05C1000 8084281E
	v_mfma_f32_16x16x32_fp8_fp8 v[136:139], a[20:21], v[100:101], v[136:139]// 000000002B04: D3F30088 0E22C914
	v_mfma_f32_16x16x32_fp8_fp8 v[136:139], a[22:23], v[102:103], v[136:139]// 000000002B0C: D3F30088 0E22CD16
	v_mfma_f32_16x16x32_fp8_fp8 v[140:143], a[24:25], v[96:97], 0// 000000002B14: D3F3008C 0A02C118
	v_mfma_f32_16x16x32_fp8_fp8 v[140:143], a[26:27], v[98:99], v[140:143]// 000000002B1C: D3F3008C 0E32C51A
	buffer_load_dwordx4 a[44:47], v30, s[16:19], 0 offen offset:1024// 000000002B24: E05C1400 80842C1E
	v_mfma_f32_16x16x32_fp8_fp8 v[140:143], a[28:29], v[100:101], v[140:143]// 000000002B2C: D3F3008C 0E32C91C
	v_mfma_f32_16x16x32_fp8_fp8 v[140:143], a[30:31], v[102:103], v[140:143]// 000000002B34: D3F3008C 0E32CD1E
	buffer_load_dword v53, v3, s[32:35], 0 offen               // 000000002B3C: E0501000 80083503
	v_mov_b32_dpp v41, v52 row_shr:4 row_mask:0xf bank_mask:0xf// 000000002B44: 7E5202FA FF011434
	v_mov_b32_dpp v42, v52 row_shl:4 row_mask:0xf bank_mask:0xf// 000000002B4C: 7E5402FA FF010434
	v_cndmask_b32_e64 v248, v52, v41, s[44:45]                 // 000000002B54: D10000F8 00B25334
	v_cndmask_b32_e64 v249, v42, v52, s[44:45]                 // 000000002B5C: D10000F9 00B2692A
	v_mov_b32_dpp v41, v72 row_shr:4 row_mask:0xf bank_mask:0xf// 000000002B64: 7E5202FA FF011448
	v_mov_b32_dpp v42, v72 row_shl:4 row_mask:0xf bank_mask:0xf// 000000002B6C: 7E5402FA FF010448
	v_cndmask_b32_e64 v252, v72, v41, s[44:45]                 // 000000002B74: D10000FC 00B25348
	v_cndmask_b32_e64 v253, v42, v72, s[44:45]                 // 000000002B7C: D10000FD 00B2912A
	v_or_b32_dpp v128, v136, v128 row_shr:8 row_mask:0xf bank_mask:0xf bound_ctrl:1// 000000002B84: 290100FA FF091888
	v_or_b32_dpp v129, v137, v129 row_shr:8 row_mask:0xf bank_mask:0xf bound_ctrl:1// 000000002B8C: 290302FA FF091889
	v_or_b32_dpp v130, v138, v130 row_shr:8 row_mask:0xf bank_mask:0xf bound_ctrl:1// 000000002B94: 290504FA FF09188A
	v_or_b32_dpp v131, v139, v131 row_shr:8 row_mask:0xf bank_mask:0xf bound_ctrl:1// 000000002B9C: 290706FA FF09188B
	v_or_b32_dpp v132, v140, v132 row_shr:8 row_mask:0xf bank_mask:0xf bound_ctrl:1// 000000002BA4: 290908FA FF09188C
	v_or_b32_dpp v133, v141, v133 row_shr:8 row_mask:0xf bank_mask:0xf bound_ctrl:1// 000000002BAC: 290B0AFA FF09188D
	v_or_b32_dpp v134, v142, v134 row_shr:8 row_mask:0xf bank_mask:0xf bound_ctrl:1// 000000002BB4: 290D0CFA FF09188E
	v_or_b32_dpp v135, v143, v135 row_shr:8 row_mask:0xf bank_mask:0xf bound_ctrl:1// 000000002BBC: 290F0EFA FF09188F
	buffer_load_dword v73, v71, s[36:39], 0 offen              // 000000002BC4: E0501000 80094947
	v_mul_f32_e32 v128, v54, v128                              // 000000002BCC: 0B010136
	v_mul_f32_e32 v129, v54, v129                              // 000000002BD0: 0B030336
	v_mul_f32_e32 v130, v54, v130                              // 000000002BD4: 0B050536
	v_mul_f32_e32 v131, v54, v131                              // 000000002BD8: 0B070736
	v_mul_f32_e32 v132, v54, v132                              // 000000002BDC: 0B090936
	v_mul_f32_e32 v133, v54, v133                              // 000000002BE0: 0B0B0B36
	v_mul_f32_e32 v134, v54, v134                              // 000000002BE4: 0B0D0D36
	v_mul_f32_e32 v135, v54, v135                              // 000000002BE8: 0B0F0F36
	buffer_load_dwordx4 a[48:51], v31, s[16:19], 0 offen       // 000000002BEC: E05C1000 8084301F
	v_mul_f32_dpp v128, v248, v128 quad_perm:[0,0,0,0] row_mask:0xf bank_mask:0xf// 000000002BF4: 0B0100FA FF0000F8
	v_mul_f32_dpp v129, v248, v129 quad_perm:[1,1,1,1] row_mask:0xf bank_mask:0xf// 000000002BFC: 0B0302FA FF0055F8
	v_mul_f32_dpp v130, v248, v130 quad_perm:[2,2,2,2] row_mask:0xf bank_mask:0xf// 000000002C04: 0B0504FA FF00AAF8
	v_mul_f32_dpp v131, v248, v131 quad_perm:[3,3,3,3] row_mask:0xf bank_mask:0xf// 000000002C0C: 0B0706FA FF00FFF8
	v_mul_f32_dpp v132, v249, v132 quad_perm:[0,0,0,0] row_mask:0xf bank_mask:0xf// 000000002C14: 0B0908FA FF0000F9
	v_mul_f32_dpp v133, v249, v133 quad_perm:[1,1,1,1] row_mask:0xf bank_mask:0xf// 000000002C1C: 0B0B0AFA FF0055F9
	v_mul_f32_dpp v134, v249, v134 quad_perm:[2,2,2,2] row_mask:0xf bank_mask:0xf// 000000002C24: 0B0D0CFA FF00AAF9
	v_mul_f32_dpp v135, v249, v135 quad_perm:[3,3,3,3] row_mask:0xf bank_mask:0xf// 000000002C2C: 0B0F0EFA FF00FFF9
	buffer_load_dwordx4 a[52:55], v31, s[16:19], 0 offen offset:1024// 000000002C34: E05C1400 8084341F
	v_mov_b32_e32 v62, v128                                    // 000000002C3C: 7E7C0380
	v_max3_f32 v62, v128, v129, v62                            // 000000002C40: D1D3003E 04FB0380
	v_max3_f32 v62, v130, v131, v62                            // 000000002C48: D1D3003E 04FB0782
	v_max3_f32 v62, v132, v133, v62                            // 000000002C50: D1D3003E 04FB0B84
	v_max3_f32 v62, v134, v135, v62                            // 000000002C58: D1D3003E 04FB0F86
	ds_write_b32 v11, v62 offset:16896                         // 000000002C60: D81A4200 00003E0B
	buffer_load_dwordx4 a[56:59], v32, s[16:19], 0 offen       // 000000002C68: E05C1000 80843820
	v_mul_u32_u24_dpp v41, v20, v68 row_newbcast:1 row_mask:0xf bank_mask:0xf// 000000002C70: 105288FA FF015114
	v_mul_u32_u24_dpp v42, v20, v68 row_newbcast:5 row_mask:0xf bank_mask:0xf// 000000002C78: 105488FA FF015514
	v_mul_u32_u24_dpp v43, v20, v68 row_newbcast:9 row_mask:0xf bank_mask:0xf// 000000002C80: 105688FA FF015914
	v_mul_u32_u24_dpp v44, v20, v68 row_newbcast:13 row_mask:0xf bank_mask:0xf// 000000002C88: 105888FA FF015D14
	v_add_u32_e32 v37, v41, v7                                 // 000000002C90: 684A0F29
	v_add_u32_e32 v38, v42, v7                                 // 000000002C94: 684C0F2A
	v_add_u32_e32 v39, v43, v7                                 // 000000002C98: 684E0F2B
	v_add_u32_e32 v40, v44, v7                                 // 000000002C9C: 68500F2C
	s_waitcnt lgkmcnt(0)                                       // 000000002CA0: BF8CC07F
	s_barrier                                                  // 000000002CA4: BF8A0000
	ds_read_b32 v80, v10 offset:16896                          // 000000002CA8: D86C4200 5000000A
	ds_read_b32 v81, v10 offset:16960                          // 000000002CB0: D86C4240 5100000A
	ds_read_b32 v82, v10 offset:17024                          // 000000002CB8: D86C4280 5200000A
	ds_read_b32 v83, v10 offset:17088                          // 000000002CC0: D86C42C0 5300000A
	ds_read_b32 v84, v10 offset:17152                          // 000000002CC8: D86C4300 5400000A
	ds_read_b32 v85, v10 offset:17216                          // 000000002CD0: D86C4340 5500000A
	ds_read_b32 v86, v10 offset:17280                          // 000000002CD8: D86C4380 5600000A
	ds_read_b32 v87, v10 offset:17344                          // 000000002CE0: D86C43C0 5700000A
	ds_read_b32 v88, v10 offset:17408                          // 000000002CE8: D86C4400 5800000A
	ds_read_b32 v89, v10 offset:17472                          // 000000002CF0: D86C4440 5900000A
	ds_read_b32 v90, v10 offset:17536                          // 000000002CF8: D86C4480 5A00000A
	ds_read_b32 v91, v10 offset:17600                          // 000000002D00: D86C44C0 5B00000A
	ds_read_b32 v92, v10 offset:17664                          // 000000002D08: D86C4500 5C00000A
	ds_read_b32 v93, v10 offset:17728                          // 000000002D10: D86C4540 5D00000A
	ds_read_b32 v94, v10 offset:17792                          // 000000002D18: D86C4580 5E00000A
	ds_read_b32 v95, v10 offset:17856                          // 000000002D20: D86C45C0 5F00000A
	buffer_load_dwordx4 a[60:63], v32, s[16:19], 0 offen offset:1024// 000000002D28: E05C1400 80843C20
	v_mul_f32_e32 v224, v63, v224                              // 000000002D30: 0BC1C13F
	v_mul_f32_e32 v225, v63, v225                              // 000000002D34: 0BC3C33F
	v_mul_f32_e32 v226, v63, v226                              // 000000002D38: 0BC5C53F
	v_mul_f32_e32 v227, v63, v227                              // 000000002D3C: 0BC7C73F
	v_or_b32_dpp v192, v196, v192 row_shr:8 row_mask:0xf bank_mask:0xf bound_ctrl:1// 000000002D40: 298180FA FF0918C4
	v_or_b32_dpp v193, v197, v193 row_shr:8 row_mask:0xf bank_mask:0xf bound_ctrl:1// 000000002D48: 298382FA FF0918C5
	v_or_b32_dpp v194, v198, v194 row_shr:8 row_mask:0xf bank_mask:0xf bound_ctrl:1// 000000002D50: 298584FA FF0918C6
	v_or_b32_dpp v195, v199, v195 row_shr:8 row_mask:0xf bank_mask:0xf bound_ctrl:1// 000000002D58: 298786FA FF0918C7
	s_waitcnt lgkmcnt(0)                                       // 000000002D60: BF8CC07F
	v_max3_f32 v62, v80, v81, v62                              // 000000002D64: D1D3003E 04FAA350
	v_max3_f32 v62, v82, v83, v62                              // 000000002D6C: D1D3003E 04FAA752
	v_max3_f32 v62, v84, v85, v62                              // 000000002D74: D1D3003E 04FAAB54
	v_max3_f32 v62, v86, v87, v62                              // 000000002D7C: D1D3003E 04FAAF56
	v_max3_f32 v62, v88, v89, v62                              // 000000002D84: D1D3003E 04FAB358
	v_max3_f32 v62, v90, v91, v62                              // 000000002D8C: D1D3003E 04FAB75A
	v_max3_f32 v62, v92, v93, v62                              // 000000002D94: D1D3003E 04FABB5C
	v_max3_f32 v62, v94, v95, v62                              // 000000002D9C: D1D3003E 04FABF5E
	buffer_load_dwordx4 a[96:99], v37, s[20:23], 0 offen       // 000000002DA4: E05C1000 80856025
	v_cmp_eq_u32_e64 s[40:41], v69, v14                        // 000000002DAC: D0CA0028 00021D45
	s_nop 1                                                    // 000000002DB4: BF800001
	v_mov_b32_dpp v41, v62 row_ror:8 row_mask:0xf bank_mask:0xf// 000000002DB8: 7E5202FA FF01283E
	v_max_f32_e32 v62, v62, v41                                // 000000002DC0: 167C533E
	v_max_f32_e32 v18, v62, v14                                // 000000002DC4: 16241D3E
	v_mul_f32_e32 v67, s64, v18                                // 000000002DC8: 0A862440
	v_fma_f32 v128, v128, s64, -v67                            // 000000002DCC: D1CB0080 850C8180
	v_fma_f32 v129, v129, s64, -v67                            // 000000002DD4: D1CB0081 850C8181
	v_fma_f32 v130, v130, s64, -v67                            // 000000002DDC: D1CB0082 850C8182
	v_fma_f32 v131, v131, s64, -v67                            // 000000002DE4: D1CB0083 850C8183
	v_fma_f32 v132, v132, s64, -v67                            // 000000002DEC: D1CB0084 850C8184
	v_fma_f32 v133, v133, s64, -v67                            // 000000002DF4: D1CB0085 850C8185
	v_fma_f32 v134, v134, s64, -v67                            // 000000002DFC: D1CB0086 850C8186
	v_fma_f32 v135, v135, s64, -v67                            // 000000002E04: D1CB0087 850C8187
	buffer_load_dwordx4 a[100:103], v38, s[20:23], 0 offen     // 000000002E0C: E05C1000 80856426
	v_exp_f32_e32 v128, v128                                   // 000000002E14: 7F004180
	v_exp_f32_e32 v129, v129                                   // 000000002E18: 7F024181
	v_exp_f32_e32 v130, v130                                   // 000000002E1C: 7F044182
	v_exp_f32_e32 v131, v131                                   // 000000002E20: 7F064183
	v_exp_f32_e32 v132, v132                                   // 000000002E24: 7F084184
	v_exp_f32_e32 v133, v133                                   // 000000002E28: 7F0A4185
	v_exp_f32_e32 v134, v134                                   // 000000002E2C: 7F0C4186
	v_exp_f32_e32 v135, v135                                   // 000000002E30: 7F0E4187
	buffer_load_dwordx4 a[104:107], v39, s[20:23], 0 offen     // 000000002E34: E05C1000 80856827
	v_mul_f32_dpp v240, v252, v128 quad_perm:[0,0,0,0] row_mask:0xf bank_mask:0xf// 000000002E3C: 0BE100FA FF0000FC
	v_mul_f32_dpp v241, v252, v129 quad_perm:[1,1,1,1] row_mask:0xf bank_mask:0xf// 000000002E44: 0BE302FA FF0055FC
	v_mul_f32_dpp v242, v252, v130 quad_perm:[2,2,2,2] row_mask:0xf bank_mask:0xf// 000000002E4C: 0BE504FA FF00AAFC
	v_mul_f32_dpp v243, v252, v131 quad_perm:[3,3,3,3] row_mask:0xf bank_mask:0xf// 000000002E54: 0BE706FA FF00FFFC
	v_mul_f32_dpp v244, v253, v132 quad_perm:[0,0,0,0] row_mask:0xf bank_mask:0xf// 000000002E5C: 0BE908FA FF0000FD
	v_mul_f32_dpp v245, v253, v133 quad_perm:[1,1,1,1] row_mask:0xf bank_mask:0xf// 000000002E64: 0BEB0AFA FF0055FD
	v_mul_f32_dpp v246, v253, v134 quad_perm:[2,2,2,2] row_mask:0xf bank_mask:0xf// 000000002E6C: 0BED0CFA FF00AAFD
	v_mul_f32_dpp v247, v253, v135 quad_perm:[3,3,3,3] row_mask:0xf bank_mask:0xf// 000000002E74: 0BEF0EFA FF00FFFD
	v_mov_b32_e32 v62, 0x358637bd                              // 000000002E7C: 7E7C02FF 358637BD
	v_max3_f32 v62, |v240|, |v241|, v62                        // 000000002E84: D1D3033E 04FBE3F0
	v_max3_f32 v62, |v242|, |v243|, v62                        // 000000002E8C: D1D3033E 04FBE7F2
	v_max3_f32 v62, |v244|, |v245|, v62                        // 000000002E94: D1D3033E 04FBEBF4
	v_max3_f32 v62, |v246|, |v247|, v62                        // 000000002E9C: D1D3033E 04FBEFF6
	buffer_load_dwordx4 a[108:111], v40, s[20:23], 0 offen     // 000000002EA4: E05C1000 80856C28
	ds_write_b32 v11, v62 offset:20992                         // 000000002EAC: D81A5200 00003E0B
	v_sub_f32_e32 v63, v14, v18                                // 000000002EB4: 047E250E
	v_cndmask_b32_e64 v63, v63, 0, s[40:41]                    // 000000002EB8: D100003F 00A1013F
	v_mov_b32_e32 v14, v18                                     // 000000002EC0: 7E1C0312
	v_mul_f32_e32 v63, s64, v63                                // 000000002EC4: 0A7E7E40
	v_exp_f32_e32 v63, v63                                     // 000000002EC8: 7E7E413F
	s_waitcnt lgkmcnt(0)                                       // 000000002ECC: BF8CC07F
	s_barrier                                                  // 000000002ED0: BF8A0000
	ds_read_b32 v80, v10 offset:20992                          // 000000002ED4: D86C5200 5000000A
	ds_read_b32 v81, v10 offset:21056                          // 000000002EDC: D86C5240 5100000A
	ds_read_b32 v82, v10 offset:21120                          // 000000002EE4: D86C5280 5200000A
	ds_read_b32 v83, v10 offset:21184                          // 000000002EEC: D86C52C0 5300000A
	ds_read_b32 v84, v10 offset:21248                          // 000000002EF4: D86C5300 5400000A
	ds_read_b32 v85, v10 offset:21312                          // 000000002EFC: D86C5340 5500000A
	ds_read_b32 v86, v10 offset:21376                          // 000000002F04: D86C5380 5600000A
	ds_read_b32 v87, v10 offset:21440                          // 000000002F0C: D86C53C0 5700000A
	ds_read_b32 v88, v10 offset:21504                          // 000000002F14: D86C5400 5800000A
	ds_read_b32 v89, v10 offset:21568                          // 000000002F1C: D86C5440 5900000A
	ds_read_b32 v90, v10 offset:21632                          // 000000002F24: D86C5480 5A00000A
	ds_read_b32 v91, v10 offset:21696                          // 000000002F2C: D86C54C0 5B00000A
	ds_read_b32 v92, v10 offset:21760                          // 000000002F34: D86C5500 5C00000A
	ds_read_b32 v93, v10 offset:21824                          // 000000002F3C: D86C5540 5D00000A
	ds_read_b32 v94, v10 offset:21888                          // 000000002F44: D86C5580 5E00000A
	ds_read_b32 v95, v10 offset:21952                          // 000000002F4C: D86C55C0 5F00000A
	v_mul_f32_e32 v47, v63, v47                                // 000000002F54: 0A5E5F3F
	v_mov_b32_e32 v51, v128                                    // 000000002F58: 7E660380
	v_add_f32_e32 v51, v129, v51                               // 000000002F5C: 02666781
	v_add_f32_e32 v51, v130, v51                               // 000000002F60: 02666782
	v_add_f32_e32 v51, v131, v51                               // 000000002F64: 02666783
	v_add_f32_e32 v51, v132, v51                               // 000000002F68: 02666784
	v_add_f32_e32 v51, v133, v51                               // 000000002F6C: 02666785
	v_add_f32_e32 v51, v134, v51                               // 000000002F70: 02666786
	v_add_f32_e32 v51, v135, v51                               // 000000002F74: 02666787
	v_add_f32_e32 v47, v51, v47                                // 000000002F78: 025E5F33
	s_waitcnt lgkmcnt(0)                                       // 000000002F7C: BF8CC07F
	v_max3_f32 v62, |v80|, |v81|, v62                          // 000000002F80: D1D3033E 04FAA350
	v_max3_f32 v62, |v82|, |v83|, v62                          // 000000002F88: D1D3033E 04FAA752
	v_max3_f32 v62, |v84|, |v85|, v62                          // 000000002F90: D1D3033E 04FAAB54
	v_max3_f32 v62, |v86|, |v87|, v62                          // 000000002F98: D1D3033E 04FAAF56
	v_max3_f32 v62, |v88|, |v89|, v62                          // 000000002FA0: D1D3033E 04FAB358
	v_max3_f32 v62, |v90|, |v91|, v62                          // 000000002FA8: D1D3033E 04FAB75A
	v_max3_f32 v62, |v92|, |v93|, v62                          // 000000002FB0: D1D3033E 04FABB5C
	v_max3_f32 v62, |v94|, |v95|, v62                          // 000000002FB8: D1D3033E 04FABF5E
	s_nop 2                                                    // 000000002FC0: BF800002
	v_mov_b32_dpp v41, v62 row_ror:8 row_mask:0xf bank_mask:0xf// 000000002FC4: 7E5202FA FF01283E
	v_max_f32_e32 v62, v62, v41                                // 000000002FCC: 167C533E
	v_rcp_f32_e32 v62, v62                                     // 000000002FD0: 7E7C453E
	s_nop 1                                                    // 000000002FD4: BF800001
	v_mul_f32_e32 v62, 0x43e00000, v62                         // 000000002FD8: 0A7C7CFF 43E00000
	v_mul_f32_e32 v128, v62, v240                              // 000000002FE0: 0B01E13E
	v_mul_f32_e32 v129, v62, v241                              // 000000002FE4: 0B03E33E
	v_mul_f32_e32 v130, v62, v242                              // 000000002FE8: 0B05E53E
	v_mul_f32_e32 v131, v62, v243                              // 000000002FEC: 0B07E73E
	v_mul_f32_e32 v132, v62, v244                              // 000000002FF0: 0B09E93E
	v_mul_f32_e32 v133, v62, v245                              // 000000002FF4: 0B0BEB3E
	v_mul_f32_e32 v134, v62, v246                              // 000000002FF8: 0B0DED3E
	v_mul_f32_e32 v135, v62, v247                              // 000000002FFC: 0B0FEF3E
	v_cvt_pk_fp8_f32 v128, v128, v129                          // 000000003000: D2A20080 00030380
	v_cvt_pk_fp8_f32 v128, v130, v131 op_sel:[0,0,1]           // 000000003008: D2A24080 00030782
	v_cvt_pk_fp8_f32 v129, v132, v133                          // 000000003010: D2A20081 00030B84
	v_cvt_pk_fp8_f32 v129, v134, v135 op_sel:[0,0,1]           // 000000003018: D2A24081 00030F86
	ds_write_b32 v13, v128 offset:25088                        // 000000003020: D81A6200 0000800D
	ds_write_b32 v13, v129 offset:26112                        // 000000003028: D81A6600 0000810D
	v_mul_f32_e32 v192, v58, v192                              // 000000003030: 0B81813A
	v_mul_f32_e32 v193, v58, v193                              // 000000003034: 0B83833A
	v_mul_f32_e32 v194, v58, v194                              // 000000003038: 0B85853A
	v_mul_f32_e32 v195, v58, v195                              // 00000000303C: 0B87873A
	v_rcp_f32_e32 v58, v62                                     // 000000003040: 7E74453E
	s_waitcnt lgkmcnt(0)                                       // 000000003044: BF8CC07F
	s_barrier                                                  // 000000003048: BF8A0000
	ds_read_b64 v[128:129], v12 offset:25088                   // 00000000304C: D8EC6200 8000000C
	ds_read_b64 v[130:131], v12 offset:25216                   // 000000003054: D8EC6280 8200000C
	ds_read_b64 v[132:133], v12 offset:26112                   // 00000000305C: D8EC6600 8400000C
	ds_read_b64 v[134:135], v12 offset:26240                   // 000000003064: D8EC6680 8600000C
	v_add_f32_e32 v224, v224, v192                             // 00000000306C: 03C181E0
	v_add_f32_e32 v225, v225, v193                             // 000000003070: 03C383E1
	v_add_f32_e32 v226, v226, v194                             // 000000003074: 03C585E2
	v_add_f32_e32 v227, v227, v195                             // 000000003078: 03C787E3
	s_waitcnt lgkmcnt(3)                                       // 00000000307C: BF8CC37F
	v_mov_b32_dpp v136, v128 row_shl:8 row_mask:0xf bank_mask:0xf bound_ctrl:1// 000000003080: 7F1002FA FF090880
	v_and_b32_e32 v128, v128, v9                               // 000000003088: 27001380
	v_mov_b32_dpp v137, v129 row_shl:8 row_mask:0xf bank_mask:0xf bound_ctrl:1// 00000000308C: 7F1202FA FF090881
	v_and_b32_e32 v129, v129, v9                               // 000000003094: 27021381
	s_waitcnt lgkmcnt(2)                                       // 000000003098: BF8CC27F
	v_mov_b32_dpp v138, v130 row_shl:8 row_mask:0xf bank_mask:0xf bound_ctrl:1// 00000000309C: 7F1402FA FF090882
	v_and_b32_e32 v130, v130, v9                               // 0000000030A4: 27041382
	v_mov_b32_dpp v139, v131 row_shl:8 row_mask:0xf bank_mask:0xf bound_ctrl:1// 0000000030A8: 7F1602FA FF090883
	v_and_b32_e32 v131, v131, v9                               // 0000000030B0: 27061383
	s_waitcnt lgkmcnt(1)                                       // 0000000030B4: BF8CC17F
	v_mov_b32_dpp v140, v132 row_shl:8 row_mask:0xf bank_mask:0xf bound_ctrl:1// 0000000030B8: 7F1802FA FF090884
	v_and_b32_e32 v132, v132, v9                               // 0000000030C0: 27081384
	v_mov_b32_dpp v141, v133 row_shl:8 row_mask:0xf bank_mask:0xf bound_ctrl:1// 0000000030C4: 7F1A02FA FF090885
	v_and_b32_e32 v133, v133, v9                               // 0000000030CC: 270A1385
	s_waitcnt lgkmcnt(0)                                       // 0000000030D0: BF8CC07F
	v_mov_b32_dpp v142, v134 row_shl:8 row_mask:0xf bank_mask:0xf bound_ctrl:1// 0000000030D4: 7F1C02FA FF090886
	v_and_b32_e32 v134, v134, v9                               // 0000000030DC: 270C1386
	v_mov_b32_dpp v143, v135 row_shl:8 row_mask:0xf bank_mask:0xf bound_ctrl:1// 0000000030E0: 7F1E02FA FF090887
	v_and_b32_e32 v135, v135, v9                               // 0000000030E8: 270E1387
	s_waitcnt vmcnt(15)                                        // 0000000030EC: BF8C0F7F
	v_mfma_f32_16x16x32_fp8_fp8 v[192:195], a[64:65], v[128:129], 0// 0000000030F0: D3F300C0 0A030140
	v_mfma_f32_16x16x32_fp8_fp8 v[192:195], a[66:67], v[130:131], v[192:195]// 0000000030F8: D3F300C0 0F030542
	buffer_load_dwordx4 a[112:115], v37, s[20:23], 0 offen offset:1024// 000000003100: E05C1400 80857025
	v_mfma_f32_16x16x32_fp8_fp8 v[192:195], a[68:69], v[132:133], v[192:195]// 000000003108: D3F300C0 0F030944
	v_mfma_f32_16x16x32_fp8_fp8 v[192:195], a[70:71], v[134:135], v[192:195]// 000000003110: D3F300C0 0F030D46
	v_mfma_f32_16x16x32_fp8_fp8 v[192:195], a[72:73], v[136:137], v[192:195]// 000000003118: D3F300C0 0F031148
	v_mfma_f32_16x16x32_fp8_fp8 v[192:195], a[74:75], v[138:139], v[192:195]// 000000003120: D3F300C0 0F03154A
	buffer_load_dwordx4 a[116:119], v38, s[20:23], 0 offen offset:1024// 000000003128: E05C1400 80857426
	v_mfma_f32_16x16x32_fp8_fp8 v[192:195], a[76:77], v[140:141], v[192:195]// 000000003130: D3F300C0 0F03194C
	v_mfma_f32_16x16x32_fp8_fp8 v[192:195], a[78:79], v[142:143], v[192:195]// 000000003138: D3F300C0 0F031D4E
	v_mfma_f32_16x16x32_fp8_fp8 v[196:199], a[80:81], v[128:129], 0// 000000003140: D3F300C4 0A030150
	v_mfma_f32_16x16x32_fp8_fp8 v[196:199], a[82:83], v[130:131], v[196:199]// 000000003148: D3F300C4 0F130552
	buffer_load_dwordx4 a[120:123], v39, s[20:23], 0 offen offset:1024// 000000003150: E05C1400 80857827
	v_mfma_f32_16x16x32_fp8_fp8 v[196:199], a[84:85], v[132:133], v[196:199]// 000000003158: D3F300C4 0F130954
	v_mfma_f32_16x16x32_fp8_fp8 v[196:199], a[86:87], v[134:135], v[196:199]// 000000003160: D3F300C4 0F130D56
	v_mfma_f32_16x16x32_fp8_fp8 v[196:199], a[88:89], v[136:137], v[196:199]// 000000003168: D3F300C4 0F131158
	v_mfma_f32_16x16x32_fp8_fp8 v[196:199], a[90:91], v[138:139], v[196:199]// 000000003170: D3F300C4 0F13155A
	buffer_load_dwordx4 a[124:127], v40, s[20:23], 0 offen offset:1024// 000000003178: E05C1400 80857C28
	v_mfma_f32_16x16x32_fp8_fp8 v[196:199], a[92:93], v[140:141], v[196:199]// 000000003180: D3F300C4 0F13195C
	s_lshr_b32 s57, s70, 4                                     // 000000003188: 8F398446
	s_add_u32 s57, 48, s57                                     // 00000000318C: 803939B0
	v_mfma_f32_16x16x32_fp8_fp8 v[196:199], a[94:95], v[142:143], v[196:199]// 000000003190: D3F300C4 0F131D5E
	s_cmp_ge_u32 s57, s73                                      // 000000003198: BF094939
	s_cselect_b32 s56, 0, s56                                  // 00000000319C: 85383880
	v_add_u32_e32 v1, s56, v1                                  // 0000000031A0: 68020238
	s_addk_i32 s70, 0x100                                      // 0000000031A4: B7460100
	s_cmp_lt_i32 s70, s71                                      // 0000000031A8: BF044746
	s_cbranch_scc0 label_05C7                                  // 0000000031AC: BF8401DB
	s_waitcnt vmcnt(8) lgkmcnt(0)                              // 0000000031B0: BF8C0078
	v_mul_u32_u24_dpp v41, v19, v68 row_newbcast:0 row_mask:0xf bank_mask:0xf// 0000000031B4: 105288FA FF015013
	v_mul_u32_u24_dpp v42, v19, v68 row_newbcast:4 row_mask:0xf bank_mask:0xf// 0000000031BC: 105488FA FF015413
	v_mul_u32_u24_dpp v43, v19, v68 row_newbcast:8 row_mask:0xf bank_mask:0xf// 0000000031C4: 105688FA FF015813
	v_mul_u32_u24_dpp v44, v19, v68 row_newbcast:12 row_mask:0xf bank_mask:0xf// 0000000031CC: 105888FA FF015C13
	v_add_u32_e32 v25, v41, v6                                 // 0000000031D4: 68320D29
	v_add_u32_e32 v26, v42, v6                                 // 0000000031D8: 68340D2A
	v_add_u32_e32 v27, v43, v6                                 // 0000000031DC: 68360D2B
	v_add_u32_e32 v28, v44, v6                                 // 0000000031E0: 68380D2C
	v_mul_u32_u24_dpp v41, v19, v78 quad_perm:[0,0,0,0] row_mask:0xf bank_mask:0xf// 0000000031E4: 10529CFA FF000013
	v_add_u32_e32 v2, v41, v74                                 // 0000000031EC: 68049529
	v_mul_u32_u24_dpp v41, v19, v78 quad_perm:[0,0,0,0] row_mask:0xf bank_mask:0xf// 0000000031F0: 10529CFA FF000013
	v_add_u32_e32 v70, v41, v75                                // 0000000031F8: 688C9729
	v_mfma_f32_16x16x32_fp8_fp8 v[128:131], a[32:33], v[96:97], 0// 0000000031FC: D3F30080 0A02C120
	v_mfma_f32_16x16x32_fp8_fp8 v[128:131], a[34:35], v[98:99], v[128:131]// 000000003204: D3F30080 0E02C522
	buffer_load_dwordx4 a[0:3], v25, s[16:19], 0 offen         // 00000000320C: E05C1000 80840019
	v_mfma_f32_16x16x32_fp8_fp8 v[128:131], a[36:37], v[100:101], v[128:131]// 000000003214: D3F30080 0E02C924
	v_mfma_f32_16x16x32_fp8_fp8 v[128:131], a[38:39], v[102:103], v[128:131]// 00000000321C: D3F30080 0E02CD26
	buffer_load_dword v20, v1, s[24:27], 0 offen               // 000000003224: E0501000 80061401
	v_mfma_f32_16x16x32_fp8_fp8 v[132:135], a[40:41], v[96:97], 0// 00000000322C: D3F30084 0A02C128
	v_mfma_f32_16x16x32_fp8_fp8 v[132:135], a[42:43], v[98:99], v[132:135]// 000000003234: D3F30084 0E12C52A
	buffer_load_dwordx4 a[4:7], v25, s[16:19], 0 offen offset:1024// 00000000323C: E05C1400 80840419
	v_mfma_f32_16x16x32_fp8_fp8 v[132:135], a[44:45], v[100:101], v[132:135]// 000000003244: D3F30084 0E12C92C
	v_mfma_f32_16x16x32_fp8_fp8 v[132:135], a[46:47], v[102:103], v[132:135]// 00000000324C: D3F30084 0E12CD2E
	v_mfma_f32_16x16x32_fp8_fp8 v[136:139], a[48:49], v[96:97], 0// 000000003254: D3F30088 0A02C130
	v_mfma_f32_16x16x32_fp8_fp8 v[136:139], a[50:51], v[98:99], v[136:139]// 00000000325C: D3F30088 0E22C532
	buffer_load_dwordx4 a[8:11], v26, s[16:19], 0 offen        // 000000003264: E05C1000 8084081A
	v_mfma_f32_16x16x32_fp8_fp8 v[136:139], a[52:53], v[100:101], v[136:139]// 00000000326C: D3F30088 0E22C934
	v_mfma_f32_16x16x32_fp8_fp8 v[136:139], a[54:55], v[102:103], v[136:139]// 000000003274: D3F30088 0E22CD36
	v_mfma_f32_16x16x32_fp8_fp8 v[140:143], a[56:57], v[96:97], 0// 00000000327C: D3F3008C 0A02C138
	v_mfma_f32_16x16x32_fp8_fp8 v[140:143], a[58:59], v[98:99], v[140:143]// 000000003284: D3F3008C 0E32C53A
	buffer_load_dwordx4 a[12:15], v26, s[16:19], 0 offen offset:1024// 00000000328C: E05C1400 80840C1A
	v_mfma_f32_16x16x32_fp8_fp8 v[140:143], a[60:61], v[100:101], v[140:143]// 000000003294: D3F3008C 0E32C93C
	v_mfma_f32_16x16x32_fp8_fp8 v[140:143], a[62:63], v[102:103], v[140:143]// 00000000329C: D3F3008C 0E32CD3E
	buffer_load_dword v52, v2, s[32:35], 0 offen               // 0000000032A4: E0501000 80083402
	v_mov_b32_dpp v41, v53 row_shr:4 row_mask:0xf bank_mask:0xf// 0000000032AC: 7E5202FA FF011435
	v_mov_b32_dpp v42, v53 row_shl:4 row_mask:0xf bank_mask:0xf// 0000000032B4: 7E5402FA FF010435
	v_cndmask_b32_e64 v248, v53, v41, s[44:45]                 // 0000000032BC: D10000F8 00B25335
	v_cndmask_b32_e64 v249, v42, v53, s[44:45]                 // 0000000032C4: D10000F9 00B26B2A
	v_mov_b32_dpp v41, v73 row_shr:4 row_mask:0xf bank_mask:0xf// 0000000032CC: 7E5202FA FF011449
	v_mov_b32_dpp v42, v73 row_shl:4 row_mask:0xf bank_mask:0xf// 0000000032D4: 7E5402FA FF010449
	v_cndmask_b32_e64 v252, v73, v41, s[44:45]                 // 0000000032DC: D10000FC 00B25349
	v_cndmask_b32_e64 v253, v42, v73, s[44:45]                 // 0000000032E4: D10000FD 00B2932A
	v_or_b32_dpp v128, v136, v128 row_shr:8 row_mask:0xf bank_mask:0xf bound_ctrl:1// 0000000032EC: 290100FA FF091888
	v_or_b32_dpp v129, v137, v129 row_shr:8 row_mask:0xf bank_mask:0xf bound_ctrl:1// 0000000032F4: 290302FA FF091889
	v_or_b32_dpp v130, v138, v130 row_shr:8 row_mask:0xf bank_mask:0xf bound_ctrl:1// 0000000032FC: 290504FA FF09188A
	v_or_b32_dpp v131, v139, v131 row_shr:8 row_mask:0xf bank_mask:0xf bound_ctrl:1// 000000003304: 290706FA FF09188B
	v_or_b32_dpp v132, v140, v132 row_shr:8 row_mask:0xf bank_mask:0xf bound_ctrl:1// 00000000330C: 290908FA FF09188C
	v_or_b32_dpp v133, v141, v133 row_shr:8 row_mask:0xf bank_mask:0xf bound_ctrl:1// 000000003314: 290B0AFA FF09188D
	v_or_b32_dpp v134, v142, v134 row_shr:8 row_mask:0xf bank_mask:0xf bound_ctrl:1// 00000000331C: 290D0CFA FF09188E
	v_or_b32_dpp v135, v143, v135 row_shr:8 row_mask:0xf bank_mask:0xf bound_ctrl:1// 000000003324: 290F0EFA FF09188F
	buffer_load_dword v72, v70, s[36:39], 0 offen              // 00000000332C: E0501000 80094846
	v_mul_f32_e32 v128, v54, v128                              // 000000003334: 0B010136
	v_mul_f32_e32 v129, v54, v129                              // 000000003338: 0B030336
	v_mul_f32_e32 v130, v54, v130                              // 00000000333C: 0B050536
	v_mul_f32_e32 v131, v54, v131                              // 000000003340: 0B070736
	v_mul_f32_e32 v132, v54, v132                              // 000000003344: 0B090936
	v_mul_f32_e32 v133, v54, v133                              // 000000003348: 0B0B0B36
	v_mul_f32_e32 v134, v54, v134                              // 00000000334C: 0B0D0D36
	v_mul_f32_e32 v135, v54, v135                              // 000000003350: 0B0F0F36
	buffer_load_dwordx4 a[16:19], v27, s[16:19], 0 offen       // 000000003354: E05C1000 8084101B
	v_mul_f32_dpp v128, v248, v128 quad_perm:[0,0,0,0] row_mask:0xf bank_mask:0xf// 00000000335C: 0B0100FA FF0000F8
	v_mul_f32_dpp v129, v248, v129 quad_perm:[1,1,1,1] row_mask:0xf bank_mask:0xf// 000000003364: 0B0302FA FF0055F8
	v_mul_f32_dpp v130, v248, v130 quad_perm:[2,2,2,2] row_mask:0xf bank_mask:0xf// 00000000336C: 0B0504FA FF00AAF8
	v_mul_f32_dpp v131, v248, v131 quad_perm:[3,3,3,3] row_mask:0xf bank_mask:0xf// 000000003374: 0B0706FA FF00FFF8
	v_mul_f32_dpp v132, v249, v132 quad_perm:[0,0,0,0] row_mask:0xf bank_mask:0xf// 00000000337C: 0B0908FA FF0000F9
	v_mul_f32_dpp v133, v249, v133 quad_perm:[1,1,1,1] row_mask:0xf bank_mask:0xf// 000000003384: 0B0B0AFA FF0055F9
	v_mul_f32_dpp v134, v249, v134 quad_perm:[2,2,2,2] row_mask:0xf bank_mask:0xf// 00000000338C: 0B0D0CFA FF00AAF9
	v_mul_f32_dpp v135, v249, v135 quad_perm:[3,3,3,3] row_mask:0xf bank_mask:0xf// 000000003394: 0B0F0EFA FF00FFF9
	buffer_load_dwordx4 a[20:23], v27, s[16:19], 0 offen offset:1024// 00000000339C: E05C1400 8084141B
	v_mov_b32_e32 v62, v128                                    // 0000000033A4: 7E7C0380
	v_max3_f32 v62, v128, v129, v62                            // 0000000033A8: D1D3003E 04FB0380
	v_max3_f32 v62, v130, v131, v62                            // 0000000033B0: D1D3003E 04FB0782
	v_max3_f32 v62, v132, v133, v62                            // 0000000033B8: D1D3003E 04FB0B84
	v_max3_f32 v62, v134, v135, v62                            // 0000000033C0: D1D3003E 04FB0F86
	ds_write_b32 v11, v62 offset:16896                         // 0000000033C8: D81A4200 00003E0B
	buffer_load_dwordx4 a[24:27], v28, s[16:19], 0 offen       // 0000000033D0: E05C1000 8084181C
	v_mul_u32_u24_dpp v41, v19, v68 row_newbcast:1 row_mask:0xf bank_mask:0xf// 0000000033D8: 105288FA FF015113
	v_mul_u32_u24_dpp v42, v19, v68 row_newbcast:5 row_mask:0xf bank_mask:0xf// 0000000033E0: 105488FA FF015513
	v_mul_u32_u24_dpp v43, v19, v68 row_newbcast:9 row_mask:0xf bank_mask:0xf// 0000000033E8: 105688FA FF015913
	v_mul_u32_u24_dpp v44, v19, v68 row_newbcast:13 row_mask:0xf bank_mask:0xf// 0000000033F0: 105888FA FF015D13
	v_add_u32_e32 v33, v41, v7                                 // 0000000033F8: 68420F29
	v_add_u32_e32 v34, v42, v7                                 // 0000000033FC: 68440F2A
	v_add_u32_e32 v35, v43, v7                                 // 000000003400: 68460F2B
	v_add_u32_e32 v36, v44, v7                                 // 000000003404: 68480F2C
	s_waitcnt lgkmcnt(0)                                       // 000000003408: BF8CC07F
	s_barrier                                                  // 00000000340C: BF8A0000
	ds_read_b32 v80, v10 offset:16896                          // 000000003410: D86C4200 5000000A
	ds_read_b32 v81, v10 offset:16960                          // 000000003418: D86C4240 5100000A
	ds_read_b32 v82, v10 offset:17024                          // 000000003420: D86C4280 5200000A
	ds_read_b32 v83, v10 offset:17088                          // 000000003428: D86C42C0 5300000A
	ds_read_b32 v84, v10 offset:17152                          // 000000003430: D86C4300 5400000A
	ds_read_b32 v85, v10 offset:17216                          // 000000003438: D86C4340 5500000A
	ds_read_b32 v86, v10 offset:17280                          // 000000003440: D86C4380 5600000A
	ds_read_b32 v87, v10 offset:17344                          // 000000003448: D86C43C0 5700000A
	ds_read_b32 v88, v10 offset:17408                          // 000000003450: D86C4400 5800000A
	ds_read_b32 v89, v10 offset:17472                          // 000000003458: D86C4440 5900000A
	ds_read_b32 v90, v10 offset:17536                          // 000000003460: D86C4480 5A00000A
	ds_read_b32 v91, v10 offset:17600                          // 000000003468: D86C44C0 5B00000A
	ds_read_b32 v92, v10 offset:17664                          // 000000003470: D86C4500 5C00000A
	ds_read_b32 v93, v10 offset:17728                          // 000000003478: D86C4540 5D00000A
	ds_read_b32 v94, v10 offset:17792                          // 000000003480: D86C4580 5E00000A
	ds_read_b32 v95, v10 offset:17856                          // 000000003488: D86C45C0 5F00000A
	buffer_load_dwordx4 a[28:31], v28, s[16:19], 0 offen offset:1024// 000000003490: E05C1400 80841C1C
	v_mul_f32_e32 v224, v63, v224                              // 000000003498: 0BC1C13F
	v_mul_f32_e32 v225, v63, v225                              // 00000000349C: 0BC3C33F
	v_mul_f32_e32 v226, v63, v226                              // 0000000034A0: 0BC5C53F
	v_mul_f32_e32 v227, v63, v227                              // 0000000034A4: 0BC7C73F
	v_or_b32_dpp v192, v196, v192 row_shr:8 row_mask:0xf bank_mask:0xf bound_ctrl:1// 0000000034A8: 298180FA FF0918C4
	v_or_b32_dpp v193, v197, v193 row_shr:8 row_mask:0xf bank_mask:0xf bound_ctrl:1// 0000000034B0: 298382FA FF0918C5
	v_or_b32_dpp v194, v198, v194 row_shr:8 row_mask:0xf bank_mask:0xf bound_ctrl:1// 0000000034B8: 298584FA FF0918C6
	v_or_b32_dpp v195, v199, v195 row_shr:8 row_mask:0xf bank_mask:0xf bound_ctrl:1// 0000000034C0: 298786FA FF0918C7
	s_waitcnt lgkmcnt(0)                                       // 0000000034C8: BF8CC07F
	v_max3_f32 v62, v80, v81, v62                              // 0000000034CC: D1D3003E 04FAA350
	v_max3_f32 v62, v82, v83, v62                              // 0000000034D4: D1D3003E 04FAA752
	v_max3_f32 v62, v84, v85, v62                              // 0000000034DC: D1D3003E 04FAAB54
	v_max3_f32 v62, v86, v87, v62                              // 0000000034E4: D1D3003E 04FAAF56
	v_max3_f32 v62, v88, v89, v62                              // 0000000034EC: D1D3003E 04FAB358
	v_max3_f32 v62, v90, v91, v62                              // 0000000034F4: D1D3003E 04FAB75A
	v_max3_f32 v62, v92, v93, v62                              // 0000000034FC: D1D3003E 04FABB5C
	v_max3_f32 v62, v94, v95, v62                              // 000000003504: D1D3003E 04FABF5E
	buffer_load_dwordx4 a[64:67], v33, s[20:23], 0 offen       // 00000000350C: E05C1000 80854021
	v_cmp_eq_u32_e64 s[40:41], v69, v14                        // 000000003514: D0CA0028 00021D45
	s_nop 1                                                    // 00000000351C: BF800001
	v_mov_b32_dpp v41, v62 row_ror:8 row_mask:0xf bank_mask:0xf// 000000003520: 7E5202FA FF01283E
	v_max_f32_e32 v62, v62, v41                                // 000000003528: 167C533E
	v_max_f32_e32 v18, v62, v14                                // 00000000352C: 16241D3E
	v_mul_f32_e32 v67, s64, v18                                // 000000003530: 0A862440
	v_fma_f32 v128, v128, s64, -v67                            // 000000003534: D1CB0080 850C8180
	v_fma_f32 v129, v129, s64, -v67                            // 00000000353C: D1CB0081 850C8181
	v_fma_f32 v130, v130, s64, -v67                            // 000000003544: D1CB0082 850C8182
	v_fma_f32 v131, v131, s64, -v67                            // 00000000354C: D1CB0083 850C8183
	v_fma_f32 v132, v132, s64, -v67                            // 000000003554: D1CB0084 850C8184
	v_fma_f32 v133, v133, s64, -v67                            // 00000000355C: D1CB0085 850C8185
	v_fma_f32 v134, v134, s64, -v67                            // 000000003564: D1CB0086 850C8186
	v_fma_f32 v135, v135, s64, -v67                            // 00000000356C: D1CB0087 850C8187
	buffer_load_dwordx4 a[68:71], v34, s[20:23], 0 offen       // 000000003574: E05C1000 80854422
	v_exp_f32_e32 v128, v128                                   // 00000000357C: 7F004180
	v_exp_f32_e32 v129, v129                                   // 000000003580: 7F024181
	v_exp_f32_e32 v130, v130                                   // 000000003584: 7F044182
	v_exp_f32_e32 v131, v131                                   // 000000003588: 7F064183
	v_exp_f32_e32 v132, v132                                   // 00000000358C: 7F084184
	v_exp_f32_e32 v133, v133                                   // 000000003590: 7F0A4185
	v_exp_f32_e32 v134, v134                                   // 000000003594: 7F0C4186
	v_exp_f32_e32 v135, v135                                   // 000000003598: 7F0E4187
	buffer_load_dwordx4 a[72:75], v35, s[20:23], 0 offen       // 00000000359C: E05C1000 80854823
	v_mul_f32_dpp v240, v252, v128 quad_perm:[0,0,0,0] row_mask:0xf bank_mask:0xf// 0000000035A4: 0BE100FA FF0000FC
	v_mul_f32_dpp v241, v252, v129 quad_perm:[1,1,1,1] row_mask:0xf bank_mask:0xf// 0000000035AC: 0BE302FA FF0055FC
	v_mul_f32_dpp v242, v252, v130 quad_perm:[2,2,2,2] row_mask:0xf bank_mask:0xf// 0000000035B4: 0BE504FA FF00AAFC
	v_mul_f32_dpp v243, v252, v131 quad_perm:[3,3,3,3] row_mask:0xf bank_mask:0xf// 0000000035BC: 0BE706FA FF00FFFC
	v_mul_f32_dpp v244, v253, v132 quad_perm:[0,0,0,0] row_mask:0xf bank_mask:0xf// 0000000035C4: 0BE908FA FF0000FD
	v_mul_f32_dpp v245, v253, v133 quad_perm:[1,1,1,1] row_mask:0xf bank_mask:0xf// 0000000035CC: 0BEB0AFA FF0055FD
	v_mul_f32_dpp v246, v253, v134 quad_perm:[2,2,2,2] row_mask:0xf bank_mask:0xf// 0000000035D4: 0BED0CFA FF00AAFD
	v_mul_f32_dpp v247, v253, v135 quad_perm:[3,3,3,3] row_mask:0xf bank_mask:0xf// 0000000035DC: 0BEF0EFA FF00FFFD
	v_mov_b32_e32 v62, 0x358637bd                              // 0000000035E4: 7E7C02FF 358637BD
	v_max3_f32 v62, |v240|, |v241|, v62                        // 0000000035EC: D1D3033E 04FBE3F0
	v_max3_f32 v62, |v242|, |v243|, v62                        // 0000000035F4: D1D3033E 04FBE7F2
	v_max3_f32 v62, |v244|, |v245|, v62                        // 0000000035FC: D1D3033E 04FBEBF4
	v_max3_f32 v62, |v246|, |v247|, v62                        // 000000003604: D1D3033E 04FBEFF6
	buffer_load_dwordx4 a[76:79], v36, s[20:23], 0 offen       // 00000000360C: E05C1000 80854C24
	ds_write_b32 v11, v62 offset:20992                         // 000000003614: D81A5200 00003E0B
	v_sub_f32_e32 v63, v14, v18                                // 00000000361C: 047E250E
	v_cndmask_b32_e64 v63, v63, 0, s[40:41]                    // 000000003620: D100003F 00A1013F
	v_mov_b32_e32 v14, v18                                     // 000000003628: 7E1C0312
	v_mul_f32_e32 v63, s64, v63                                // 00000000362C: 0A7E7E40
	v_exp_f32_e32 v63, v63                                     // 000000003630: 7E7E413F
	s_waitcnt lgkmcnt(0)                                       // 000000003634: BF8CC07F
	s_barrier                                                  // 000000003638: BF8A0000
	ds_read_b32 v80, v10 offset:20992                          // 00000000363C: D86C5200 5000000A
	ds_read_b32 v81, v10 offset:21056                          // 000000003644: D86C5240 5100000A
	ds_read_b32 v82, v10 offset:21120                          // 00000000364C: D86C5280 5200000A
	ds_read_b32 v83, v10 offset:21184                          // 000000003654: D86C52C0 5300000A
	ds_read_b32 v84, v10 offset:21248                          // 00000000365C: D86C5300 5400000A
	ds_read_b32 v85, v10 offset:21312                          // 000000003664: D86C5340 5500000A
	ds_read_b32 v86, v10 offset:21376                          // 00000000366C: D86C5380 5600000A
	ds_read_b32 v87, v10 offset:21440                          // 000000003674: D86C53C0 5700000A
	ds_read_b32 v88, v10 offset:21504                          // 00000000367C: D86C5400 5800000A
	ds_read_b32 v89, v10 offset:21568                          // 000000003684: D86C5440 5900000A
	ds_read_b32 v90, v10 offset:21632                          // 00000000368C: D86C5480 5A00000A
	ds_read_b32 v91, v10 offset:21696                          // 000000003694: D86C54C0 5B00000A
	ds_read_b32 v92, v10 offset:21760                          // 00000000369C: D86C5500 5C00000A
	ds_read_b32 v93, v10 offset:21824                          // 0000000036A4: D86C5540 5D00000A
	ds_read_b32 v94, v10 offset:21888                          // 0000000036AC: D86C5580 5E00000A
	ds_read_b32 v95, v10 offset:21952                          // 0000000036B4: D86C55C0 5F00000A
	v_mul_f32_e32 v47, v63, v47                                // 0000000036BC: 0A5E5F3F
	v_mov_b32_e32 v51, v128                                    // 0000000036C0: 7E660380
	v_add_f32_e32 v51, v129, v51                               // 0000000036C4: 02666781
	v_add_f32_e32 v51, v130, v51                               // 0000000036C8: 02666782
	v_add_f32_e32 v51, v131, v51                               // 0000000036CC: 02666783
	v_add_f32_e32 v51, v132, v51                               // 0000000036D0: 02666784
	v_add_f32_e32 v51, v133, v51                               // 0000000036D4: 02666785
	v_add_f32_e32 v51, v134, v51                               // 0000000036D8: 02666786
	v_add_f32_e32 v51, v135, v51                               // 0000000036DC: 02666787
	v_add_f32_e32 v47, v51, v47                                // 0000000036E0: 025E5F33
	s_waitcnt lgkmcnt(0)                                       // 0000000036E4: BF8CC07F
	v_max3_f32 v62, |v80|, |v81|, v62                          // 0000000036E8: D1D3033E 04FAA350
	v_max3_f32 v62, |v82|, |v83|, v62                          // 0000000036F0: D1D3033E 04FAA752
	v_max3_f32 v62, |v84|, |v85|, v62                          // 0000000036F8: D1D3033E 04FAAB54
	v_max3_f32 v62, |v86|, |v87|, v62                          // 000000003700: D1D3033E 04FAAF56
	v_max3_f32 v62, |v88|, |v89|, v62                          // 000000003708: D1D3033E 04FAB358
	v_max3_f32 v62, |v90|, |v91|, v62                          // 000000003710: D1D3033E 04FAB75A
	v_max3_f32 v62, |v92|, |v93|, v62                          // 000000003718: D1D3033E 04FABB5C
	v_max3_f32 v62, |v94|, |v95|, v62                          // 000000003720: D1D3033E 04FABF5E
	s_nop 2                                                    // 000000003728: BF800002
	v_mov_b32_dpp v41, v62 row_ror:8 row_mask:0xf bank_mask:0xf// 00000000372C: 7E5202FA FF01283E
	v_max_f32_e32 v62, v62, v41                                // 000000003734: 167C533E
	v_rcp_f32_e32 v62, v62                                     // 000000003738: 7E7C453E
	s_nop 1                                                    // 00000000373C: BF800001
	v_mul_f32_e32 v62, 0x43e00000, v62                         // 000000003740: 0A7C7CFF 43E00000
	v_mul_f32_e32 v128, v62, v240                              // 000000003748: 0B01E13E
	v_mul_f32_e32 v129, v62, v241                              // 00000000374C: 0B03E33E
	v_mul_f32_e32 v130, v62, v242                              // 000000003750: 0B05E53E
	v_mul_f32_e32 v131, v62, v243                              // 000000003754: 0B07E73E
	v_mul_f32_e32 v132, v62, v244                              // 000000003758: 0B09E93E
	v_mul_f32_e32 v133, v62, v245                              // 00000000375C: 0B0BEB3E
	v_mul_f32_e32 v134, v62, v246                              // 000000003760: 0B0DED3E
	v_mul_f32_e32 v135, v62, v247                              // 000000003764: 0B0FEF3E
	v_cvt_pk_fp8_f32 v128, v128, v129                          // 000000003768: D2A20080 00030380
	v_cvt_pk_fp8_f32 v128, v130, v131 op_sel:[0,0,1]           // 000000003770: D2A24080 00030782
	v_cvt_pk_fp8_f32 v129, v132, v133                          // 000000003778: D2A20081 00030B84
	v_cvt_pk_fp8_f32 v129, v134, v135 op_sel:[0,0,1]           // 000000003780: D2A24081 00030F86
	ds_write_b32 v13, v128 offset:25088                        // 000000003788: D81A6200 0000800D
	ds_write_b32 v13, v129 offset:26112                        // 000000003790: D81A6600 0000810D
	v_mul_f32_e32 v192, v58, v192                              // 000000003798: 0B81813A
	v_mul_f32_e32 v193, v58, v193                              // 00000000379C: 0B83833A
	v_mul_f32_e32 v194, v58, v194                              // 0000000037A0: 0B85853A
	v_mul_f32_e32 v195, v58, v195                              // 0000000037A4: 0B87873A
	v_rcp_f32_e32 v58, v62                                     // 0000000037A8: 7E74453E
	s_waitcnt lgkmcnt(0)                                       // 0000000037AC: BF8CC07F
	s_barrier                                                  // 0000000037B0: BF8A0000
	ds_read_b64 v[128:129], v12 offset:25088                   // 0000000037B4: D8EC6200 8000000C
	ds_read_b64 v[130:131], v12 offset:25216                   // 0000000037BC: D8EC6280 8200000C
	ds_read_b64 v[132:133], v12 offset:26112                   // 0000000037C4: D8EC6600 8400000C
	ds_read_b64 v[134:135], v12 offset:26240                   // 0000000037CC: D8EC6680 8600000C
	v_add_f32_e32 v224, v224, v192                             // 0000000037D4: 03C181E0
	v_add_f32_e32 v225, v225, v193                             // 0000000037D8: 03C383E1
	v_add_f32_e32 v226, v226, v194                             // 0000000037DC: 03C585E2
	v_add_f32_e32 v227, v227, v195                             // 0000000037E0: 03C787E3
	s_waitcnt lgkmcnt(3)                                       // 0000000037E4: BF8CC37F
	v_mov_b32_dpp v136, v128 row_shl:8 row_mask:0xf bank_mask:0xf bound_ctrl:1// 0000000037E8: 7F1002FA FF090880
	v_and_b32_e32 v128, v128, v9                               // 0000000037F0: 27001380
	v_mov_b32_dpp v137, v129 row_shl:8 row_mask:0xf bank_mask:0xf bound_ctrl:1// 0000000037F4: 7F1202FA FF090881
	v_and_b32_e32 v129, v129, v9                               // 0000000037FC: 27021381
	s_waitcnt lgkmcnt(2)                                       // 000000003800: BF8CC27F
	v_mov_b32_dpp v138, v130 row_shl:8 row_mask:0xf bank_mask:0xf bound_ctrl:1// 000000003804: 7F1402FA FF090882
	v_and_b32_e32 v130, v130, v9                               // 00000000380C: 27041382
	v_mov_b32_dpp v139, v131 row_shl:8 row_mask:0xf bank_mask:0xf bound_ctrl:1// 000000003810: 7F1602FA FF090883
	v_and_b32_e32 v131, v131, v9                               // 000000003818: 27061383
	s_waitcnt lgkmcnt(1)                                       // 00000000381C: BF8CC17F
	v_mov_b32_dpp v140, v132 row_shl:8 row_mask:0xf bank_mask:0xf bound_ctrl:1// 000000003820: 7F1802FA FF090884
	v_and_b32_e32 v132, v132, v9                               // 000000003828: 27081384
	v_mov_b32_dpp v141, v133 row_shl:8 row_mask:0xf bank_mask:0xf bound_ctrl:1// 00000000382C: 7F1A02FA FF090885
	v_and_b32_e32 v133, v133, v9                               // 000000003834: 270A1385
	s_waitcnt lgkmcnt(0)                                       // 000000003838: BF8CC07F
	v_mov_b32_dpp v142, v134 row_shl:8 row_mask:0xf bank_mask:0xf bound_ctrl:1// 00000000383C: 7F1C02FA FF090886
	v_and_b32_e32 v134, v134, v9                               // 000000003844: 270C1386
	v_mov_b32_dpp v143, v135 row_shl:8 row_mask:0xf bank_mask:0xf bound_ctrl:1// 000000003848: 7F1E02FA FF090887
	v_and_b32_e32 v135, v135, v9                               // 000000003850: 270E1387
	s_waitcnt vmcnt(15)                                        // 000000003854: BF8C0F7F
	v_mfma_f32_16x16x32_fp8_fp8 v[192:195], a[96:97], v[128:129], 0// 000000003858: D3F300C0 0A030160
	v_mfma_f32_16x16x32_fp8_fp8 v[192:195], a[98:99], v[130:131], v[192:195]// 000000003860: D3F300C0 0F030562
	buffer_load_dwordx4 a[80:83], v33, s[20:23], 0 offen offset:1024// 000000003868: E05C1400 80855021
	v_mfma_f32_16x16x32_fp8_fp8 v[192:195], a[100:101], v[132:133], v[192:195]// 000000003870: D3F300C0 0F030964
	v_mfma_f32_16x16x32_fp8_fp8 v[192:195], a[102:103], v[134:135], v[192:195]// 000000003878: D3F300C0 0F030D66
	v_mfma_f32_16x16x32_fp8_fp8 v[192:195], a[104:105], v[136:137], v[192:195]// 000000003880: D3F300C0 0F031168
	v_mfma_f32_16x16x32_fp8_fp8 v[192:195], a[106:107], v[138:139], v[192:195]// 000000003888: D3F300C0 0F03156A
	buffer_load_dwordx4 a[84:87], v34, s[20:23], 0 offen offset:1024// 000000003890: E05C1400 80855422
	v_mfma_f32_16x16x32_fp8_fp8 v[192:195], a[108:109], v[140:141], v[192:195]// 000000003898: D3F300C0 0F03196C
	v_mfma_f32_16x16x32_fp8_fp8 v[192:195], a[110:111], v[142:143], v[192:195]// 0000000038A0: D3F300C0 0F031D6E
	v_mfma_f32_16x16x32_fp8_fp8 v[196:199], a[112:113], v[128:129], 0// 0000000038A8: D3F300C4 0A030170
	v_mfma_f32_16x16x32_fp8_fp8 v[196:199], a[114:115], v[130:131], v[196:199]// 0000000038B0: D3F300C4 0F130572
	buffer_load_dwordx4 a[88:91], v35, s[20:23], 0 offen offset:1024// 0000000038B8: E05C1400 80855823
	v_mfma_f32_16x16x32_fp8_fp8 v[196:199], a[116:117], v[132:133], v[196:199]// 0000000038C0: D3F300C4 0F130974
	v_mfma_f32_16x16x32_fp8_fp8 v[196:199], a[118:119], v[134:135], v[196:199]// 0000000038C8: D3F300C4 0F130D76
	v_mfma_f32_16x16x32_fp8_fp8 v[196:199], a[120:121], v[136:137], v[196:199]// 0000000038D0: D3F300C4 0F131178
	v_mfma_f32_16x16x32_fp8_fp8 v[196:199], a[122:123], v[138:139], v[196:199]// 0000000038D8: D3F300C4 0F13157A
	buffer_load_dwordx4 a[92:95], v36, s[20:23], 0 offen offset:1024// 0000000038E0: E05C1400 80855C24
	v_mfma_f32_16x16x32_fp8_fp8 v[196:199], a[124:125], v[140:141], v[196:199]// 0000000038E8: D3F300C4 0F13197C
	s_lshr_b32 s57, s70, 4                                     // 0000000038F0: 8F398446
	s_add_u32 s57, 48, s57                                     // 0000000038F4: 803939B0
	v_mfma_f32_16x16x32_fp8_fp8 v[196:199], a[126:127], v[142:143], v[196:199]// 0000000038F8: D3F300C4 0F131D7E
	s_cmp_ge_u32 s57, s73                                      // 000000003900: BF094939
	s_cselect_b32 s56, 0, s56                                  // 000000003904: 85383880
	v_add_u32_e32 v1, s56, v1                                  // 000000003908: 68020238
	s_addk_i32 s70, 0x100                                      // 00000000390C: B7460100
	s_cmp_lt_i32 s70, s71                                      // 000000003910: BF044746
	s_cbranch_scc0 label_05C7                                  // 000000003914: BF840001
	s_branch label_0212                                        // 000000003918: BF82FC4B

000000000000391c <label_05C7>:
	s_nop 0                                                    // 00000000391C: BF800000
	s_nop 0                                                    // 000000003920: BF800000
	s_branch label_097F                                        // 000000003924: BF8203B5

0000000000003928 <label_05CA>:
	s_waitcnt vmcnt(8) lgkmcnt(0)                              // 000000003928: BF8C0078
	v_mul_u32_u24_dpp v41, v20, v68 row_newbcast:0 row_mask:0xf bank_mask:0xf// 00000000392C: 105288FA FF015014
	v_mul_u32_u24_dpp v42, v20, v68 row_newbcast:4 row_mask:0xf bank_mask:0xf// 000000003934: 105488FA FF015414
	v_mul_u32_u24_dpp v43, v20, v68 row_newbcast:8 row_mask:0xf bank_mask:0xf// 00000000393C: 105688FA FF015814
	v_mul_u32_u24_dpp v44, v20, v68 row_newbcast:12 row_mask:0xf bank_mask:0xf// 000000003944: 105888FA FF015C14
	v_add_u32_e32 v29, v41, v6                                 // 00000000394C: 683A0D29
	v_add_u32_e32 v30, v42, v6                                 // 000000003950: 683C0D2A
	v_add_u32_e32 v31, v43, v6                                 // 000000003954: 683E0D2B
	v_add_u32_e32 v32, v44, v6                                 // 000000003958: 68400D2C
	v_mul_u32_u24_dpp v41, v20, v78 quad_perm:[0,0,0,0] row_mask:0xf bank_mask:0xf// 00000000395C: 10529CFA FF000014
	v_add_u32_e32 v3, v41, v74                                 // 000000003964: 68069529
	v_mul_u32_u24_dpp v41, v20, v78 quad_perm:[0,0,0,0] row_mask:0xf bank_mask:0xf// 000000003968: 10529CFA FF000014
	v_add_u32_e32 v71, v41, v75                                // 000000003970: 688E9729
	v_mfma_f32_16x16x32_fp8_fp8 v[128:131], a[0:1], v[96:97], 0// 000000003974: D3F30080 0A02C100
	buffer_load_dwordx4 a[32:35], v29, s[16:19], 0 offen       // 00000000397C: E05C1000 8084201D
	v_mfma_f32_16x16x32_fp8_fp8 v[128:131], a[2:3], v[98:99], v[128:131]// 000000003984: D3F30080 0E02C502
	v_mfma_f32_16x16x32_fp8_fp8 v[128:131], a[4:5], v[100:101], v[128:131]// 00000000398C: D3F30080 0E02C904
	buffer_load_dword v19, v1, s[24:27], 0 offen               // 000000003994: E0501000 80061301
	v_mfma_f32_16x16x32_fp8_fp8 v[128:131], a[6:7], v[102:103], v[128:131]// 00000000399C: D3F30080 0E02CD06
	v_mfma_f32_16x16x32_fp8_fp8 v[132:135], a[8:9], v[96:97], 0// 0000000039A4: D3F30084 0A02C108
	buffer_load_dwordx4 a[36:39], v29, s[16:19], 0 offen offset:1024// 0000000039AC: E05C1400 8084241D
	v_mfma_f32_16x16x32_fp8_fp8 v[132:135], a[10:11], v[98:99], v[132:135]// 0000000039B4: D3F30084 0E12C50A
	v_mfma_f32_16x16x32_fp8_fp8 v[132:135], a[12:13], v[100:101], v[132:135]// 0000000039BC: D3F30084 0E12C90C
	v_mfma_f32_16x16x32_fp8_fp8 v[132:135], a[14:15], v[102:103], v[132:135]// 0000000039C4: D3F30084 0E12CD0E
	v_mfma_f32_16x16x32_fp8_fp8 v[136:139], a[16:17], v[96:97], 0// 0000000039CC: D3F30088 0A02C110
	buffer_load_dwordx4 a[40:43], v30, s[16:19], 0 offen       // 0000000039D4: E05C1000 8084281E
	v_mfma_f32_16x16x32_fp8_fp8 v[136:139], a[18:19], v[98:99], v[136:139]// 0000000039DC: D3F30088 0E22C512
	v_mfma_f32_16x16x32_fp8_fp8 v[136:139], a[20:21], v[100:101], v[136:139]// 0000000039E4: D3F30088 0E22C914
	v_mfma_f32_16x16x32_fp8_fp8 v[136:139], a[22:23], v[102:103], v[136:139]// 0000000039EC: D3F30088 0E22CD16
	v_mfma_f32_16x16x32_fp8_fp8 v[140:143], a[24:25], v[96:97], 0// 0000000039F4: D3F3008C 0A02C118
	buffer_load_dwordx4 a[44:47], v30, s[16:19], 0 offen offset:1024// 0000000039FC: E05C1400 80842C1E
	v_mfma_f32_16x16x32_fp8_fp8 v[140:143], a[26:27], v[98:99], v[140:143]// 000000003A04: D3F3008C 0E32C51A
	v_mfma_f32_16x16x32_fp8_fp8 v[140:143], a[28:29], v[100:101], v[140:143]// 000000003A0C: D3F3008C 0E32C91C
	v_mfma_f32_16x16x32_fp8_fp8 v[140:143], a[30:31], v[102:103], v[140:143]// 000000003A14: D3F3008C 0E32CD1E
	buffer_load_dword v53, v3, s[32:35], 0 offen               // 000000003A1C: E0501000 80083503
	v_mov_b32_dpp v41, v52 row_shr:4 row_mask:0xf bank_mask:0xf// 000000003A24: 7E5202FA FF011434
	v_mov_b32_dpp v42, v52 row_shl:4 row_mask:0xf bank_mask:0xf// 000000003A2C: 7E5402FA FF010434
	v_cndmask_b32_e64 v248, v52, v41, s[44:45]                 // 000000003A34: D10000F8 00B25334
	v_cndmask_b32_e64 v249, v42, v52, s[44:45]                 // 000000003A3C: D10000F9 00B2692A
	v_mov_b32_dpp v41, v72 row_shr:4 row_mask:0xf bank_mask:0xf// 000000003A44: 7E5202FA FF011448
	v_mov_b32_dpp v42, v72 row_shl:4 row_mask:0xf bank_mask:0xf// 000000003A4C: 7E5402FA FF010448
	v_cndmask_b32_e64 v252, v72, v41, s[44:45]                 // 000000003A54: D10000FC 00B25348
	v_cndmask_b32_e64 v253, v42, v72, s[44:45]                 // 000000003A5C: D10000FD 00B2912A
	v_or_b32_dpp v128, v136, v128 row_shr:8 row_mask:0xf bank_mask:0xf bound_ctrl:1// 000000003A64: 290100FA FF091888
	v_or_b32_dpp v129, v137, v129 row_shr:8 row_mask:0xf bank_mask:0xf bound_ctrl:1// 000000003A6C: 290302FA FF091889
	v_or_b32_dpp v130, v138, v130 row_shr:8 row_mask:0xf bank_mask:0xf bound_ctrl:1// 000000003A74: 290504FA FF09188A
	v_or_b32_dpp v131, v139, v131 row_shr:8 row_mask:0xf bank_mask:0xf bound_ctrl:1// 000000003A7C: 290706FA FF09188B
	v_or_b32_dpp v132, v140, v132 row_shr:8 row_mask:0xf bank_mask:0xf bound_ctrl:1// 000000003A84: 290908FA FF09188C
	v_or_b32_dpp v133, v141, v133 row_shr:8 row_mask:0xf bank_mask:0xf bound_ctrl:1// 000000003A8C: 290B0AFA FF09188D
	v_or_b32_dpp v134, v142, v134 row_shr:8 row_mask:0xf bank_mask:0xf bound_ctrl:1// 000000003A94: 290D0CFA FF09188E
	v_or_b32_dpp v135, v143, v135 row_shr:8 row_mask:0xf bank_mask:0xf bound_ctrl:1// 000000003A9C: 290F0EFA FF09188F
	buffer_load_dword v73, v71, s[36:39], 0 offen              // 000000003AA4: E0501000 80094947
	v_mul_f32_e32 v128, v54, v128                              // 000000003AAC: 0B010136
	v_mul_f32_e32 v129, v54, v129                              // 000000003AB0: 0B030336
	v_mul_f32_e32 v130, v54, v130                              // 000000003AB4: 0B050536
	v_mul_f32_e32 v131, v54, v131                              // 000000003AB8: 0B070736
	v_mul_f32_e32 v132, v54, v132                              // 000000003ABC: 0B090936
	v_mul_f32_e32 v133, v54, v133                              // 000000003AC0: 0B0B0B36
	v_mul_f32_e32 v134, v54, v134                              // 000000003AC4: 0B0D0D36
	v_mul_f32_e32 v135, v54, v135                              // 000000003AC8: 0B0F0F36
	buffer_load_dwordx4 a[48:51], v31, s[16:19], 0 offen       // 000000003ACC: E05C1000 8084301F
	v_mul_f32_dpp v128, v248, v128 quad_perm:[0,0,0,0] row_mask:0xf bank_mask:0xf// 000000003AD4: 0B0100FA FF0000F8
	v_mul_f32_dpp v129, v248, v129 quad_perm:[1,1,1,1] row_mask:0xf bank_mask:0xf// 000000003ADC: 0B0302FA FF0055F8
	v_mul_f32_dpp v130, v248, v130 quad_perm:[2,2,2,2] row_mask:0xf bank_mask:0xf// 000000003AE4: 0B0504FA FF00AAF8
	v_mul_f32_dpp v131, v248, v131 quad_perm:[3,3,3,3] row_mask:0xf bank_mask:0xf// 000000003AEC: 0B0706FA FF00FFF8
	v_mul_f32_dpp v132, v249, v132 quad_perm:[0,0,0,0] row_mask:0xf bank_mask:0xf// 000000003AF4: 0B0908FA FF0000F9
	v_mul_f32_dpp v133, v249, v133 quad_perm:[1,1,1,1] row_mask:0xf bank_mask:0xf// 000000003AFC: 0B0B0AFA FF0055F9
	v_mul_f32_dpp v134, v249, v134 quad_perm:[2,2,2,2] row_mask:0xf bank_mask:0xf// 000000003B04: 0B0D0CFA FF00AAF9
	v_mul_f32_dpp v135, v249, v135 quad_perm:[3,3,3,3] row_mask:0xf bank_mask:0xf// 000000003B0C: 0B0F0EFA FF00FFF9
	buffer_load_dwordx4 a[52:55], v31, s[16:19], 0 offen offset:1024// 000000003B14: E05C1400 8084341F
	v_mov_b32_e32 v62, v128                                    // 000000003B1C: 7E7C0380
	v_max3_f32 v62, v128, v129, v62                            // 000000003B20: D1D3003E 04FB0380
	v_max3_f32 v62, v130, v131, v62                            // 000000003B28: D1D3003E 04FB0782
	v_max3_f32 v62, v132, v133, v62                            // 000000003B30: D1D3003E 04FB0B84
	v_max3_f32 v62, v134, v135, v62                            // 000000003B38: D1D3003E 04FB0F86
	ds_write_b32 v11, v62 offset:16896                         // 000000003B40: D81A4200 00003E0B
	buffer_load_dwordx4 a[56:59], v32, s[16:19], 0 offen       // 000000003B48: E05C1000 80843820
	v_mul_u32_u24_dpp v41, v20, v68 row_newbcast:1 row_mask:0xf bank_mask:0xf// 000000003B50: 105288FA FF015114
	v_mul_u32_u24_dpp v42, v20, v68 row_newbcast:5 row_mask:0xf bank_mask:0xf// 000000003B58: 105488FA FF015514
	v_mul_u32_u24_dpp v43, v20, v68 row_newbcast:9 row_mask:0xf bank_mask:0xf// 000000003B60: 105688FA FF015914
	v_mul_u32_u24_dpp v44, v20, v68 row_newbcast:13 row_mask:0xf bank_mask:0xf// 000000003B68: 105888FA FF015D14
	v_add_u32_e32 v37, v41, v7                                 // 000000003B70: 684A0F29
	v_add_u32_e32 v38, v42, v7                                 // 000000003B74: 684C0F2A
	v_add_u32_e32 v39, v43, v7                                 // 000000003B78: 684E0F2B
	v_add_u32_e32 v40, v44, v7                                 // 000000003B7C: 68500F2C
	s_waitcnt lgkmcnt(0)                                       // 000000003B80: BF8CC07F
	s_barrier                                                  // 000000003B84: BF8A0000
	ds_read_b32 v80, v10 offset:16896                          // 000000003B88: D86C4200 5000000A
	ds_read_b32 v81, v10 offset:16960                          // 000000003B90: D86C4240 5100000A
	ds_read_b32 v82, v10 offset:17024                          // 000000003B98: D86C4280 5200000A
	ds_read_b32 v83, v10 offset:17088                          // 000000003BA0: D86C42C0 5300000A
	ds_read_b32 v84, v10 offset:17152                          // 000000003BA8: D86C4300 5400000A
	ds_read_b32 v85, v10 offset:17216                          // 000000003BB0: D86C4340 5500000A
	ds_read_b32 v86, v10 offset:17280                          // 000000003BB8: D86C4380 5600000A
	ds_read_b32 v87, v10 offset:17344                          // 000000003BC0: D86C43C0 5700000A
	ds_read_b32 v88, v10 offset:17408                          // 000000003BC8: D86C4400 5800000A
	ds_read_b32 v89, v10 offset:17472                          // 000000003BD0: D86C4440 5900000A
	ds_read_b32 v90, v10 offset:17536                          // 000000003BD8: D86C4480 5A00000A
	ds_read_b32 v91, v10 offset:17600                          // 000000003BE0: D86C44C0 5B00000A
	ds_read_b32 v92, v10 offset:17664                          // 000000003BE8: D86C4500 5C00000A
	ds_read_b32 v93, v10 offset:17728                          // 000000003BF0: D86C4540 5D00000A
	ds_read_b32 v94, v10 offset:17792                          // 000000003BF8: D86C4580 5E00000A
	ds_read_b32 v95, v10 offset:17856                          // 000000003C00: D86C45C0 5F00000A
	buffer_load_dwordx4 a[60:63], v32, s[16:19], 0 offen offset:1024// 000000003C08: E05C1400 80843C20
	v_mul_f32_e32 v224, v63, v224                              // 000000003C10: 0BC1C13F
	v_mul_f32_e32 v225, v63, v225                              // 000000003C14: 0BC3C33F
	v_mul_f32_e32 v226, v63, v226                              // 000000003C18: 0BC5C53F
	v_mul_f32_e32 v227, v63, v227                              // 000000003C1C: 0BC7C73F
	v_or_b32_dpp v192, v196, v192 row_shr:8 row_mask:0xf bank_mask:0xf bound_ctrl:1// 000000003C20: 298180FA FF0918C4
	v_or_b32_dpp v193, v197, v193 row_shr:8 row_mask:0xf bank_mask:0xf bound_ctrl:1// 000000003C28: 298382FA FF0918C5
	v_or_b32_dpp v194, v198, v194 row_shr:8 row_mask:0xf bank_mask:0xf bound_ctrl:1// 000000003C30: 298584FA FF0918C6
	v_or_b32_dpp v195, v199, v195 row_shr:8 row_mask:0xf bank_mask:0xf bound_ctrl:1// 000000003C38: 298786FA FF0918C7
	s_waitcnt lgkmcnt(0)                                       // 000000003C40: BF8CC07F
	v_max3_f32 v62, v80, v81, v62                              // 000000003C44: D1D3003E 04FAA350
	v_max3_f32 v62, v82, v83, v62                              // 000000003C4C: D1D3003E 04FAA752
	v_max3_f32 v62, v84, v85, v62                              // 000000003C54: D1D3003E 04FAAB54
	v_max3_f32 v62, v86, v87, v62                              // 000000003C5C: D1D3003E 04FAAF56
	v_max3_f32 v62, v88, v89, v62                              // 000000003C64: D1D3003E 04FAB358
	v_max3_f32 v62, v90, v91, v62                              // 000000003C6C: D1D3003E 04FAB75A
	v_max3_f32 v62, v92, v93, v62                              // 000000003C74: D1D3003E 04FABB5C
	v_max3_f32 v62, v94, v95, v62                              // 000000003C7C: D1D3003E 04FABF5E
	buffer_load_dwordx4 a[96:99], v37, s[20:23], 0 offen       // 000000003C84: E05C1000 80856025
	v_cmp_eq_u32_e64 s[40:41], v69, v14                        // 000000003C8C: D0CA0028 00021D45
	s_nop 1                                                    // 000000003C94: BF800001
	v_mov_b32_dpp v41, v62 row_ror:8 row_mask:0xf bank_mask:0xf// 000000003C98: 7E5202FA FF01283E
	v_max_f32_e32 v62, v62, v41                                // 000000003CA0: 167C533E
	v_max_f32_e32 v18, v62, v14                                // 000000003CA4: 16241D3E
	v_mul_f32_e32 v67, s64, v18                                // 000000003CA8: 0A862440
	v_fma_f32 v128, v128, s64, -v67                            // 000000003CAC: D1CB0080 850C8180
	v_fma_f32 v129, v129, s64, -v67                            // 000000003CB4: D1CB0081 850C8181
	v_fma_f32 v130, v130, s64, -v67                            // 000000003CBC: D1CB0082 850C8182
	v_fma_f32 v131, v131, s64, -v67                            // 000000003CC4: D1CB0083 850C8183
	v_fma_f32 v132, v132, s64, -v67                            // 000000003CCC: D1CB0084 850C8184
	v_fma_f32 v133, v133, s64, -v67                            // 000000003CD4: D1CB0085 850C8185
	v_fma_f32 v134, v134, s64, -v67                            // 000000003CDC: D1CB0086 850C8186
	v_fma_f32 v135, v135, s64, -v67                            // 000000003CE4: D1CB0087 850C8187
	buffer_load_dwordx4 a[100:103], v38, s[20:23], 0 offen     // 000000003CEC: E05C1000 80856426
	v_exp_f32_e32 v128, v128                                   // 000000003CF4: 7F004180
	v_exp_f32_e32 v129, v129                                   // 000000003CF8: 7F024181
	v_exp_f32_e32 v130, v130                                   // 000000003CFC: 7F044182
	v_exp_f32_e32 v131, v131                                   // 000000003D00: 7F064183
	v_exp_f32_e32 v132, v132                                   // 000000003D04: 7F084184
	v_exp_f32_e32 v133, v133                                   // 000000003D08: 7F0A4185
	v_exp_f32_e32 v134, v134                                   // 000000003D0C: 7F0C4186
	v_exp_f32_e32 v135, v135                                   // 000000003D10: 7F0E4187
	buffer_load_dwordx4 a[104:107], v39, s[20:23], 0 offen     // 000000003D14: E05C1000 80856827
	v_mul_f32_dpp v240, v252, v128 quad_perm:[0,0,0,0] row_mask:0xf bank_mask:0xf// 000000003D1C: 0BE100FA FF0000FC
	v_mul_f32_dpp v241, v252, v129 quad_perm:[1,1,1,1] row_mask:0xf bank_mask:0xf// 000000003D24: 0BE302FA FF0055FC
	v_mul_f32_dpp v242, v252, v130 quad_perm:[2,2,2,2] row_mask:0xf bank_mask:0xf// 000000003D2C: 0BE504FA FF00AAFC
	v_mul_f32_dpp v243, v252, v131 quad_perm:[3,3,3,3] row_mask:0xf bank_mask:0xf// 000000003D34: 0BE706FA FF00FFFC
	v_mul_f32_dpp v244, v253, v132 quad_perm:[0,0,0,0] row_mask:0xf bank_mask:0xf// 000000003D3C: 0BE908FA FF0000FD
	v_mul_f32_dpp v245, v253, v133 quad_perm:[1,1,1,1] row_mask:0xf bank_mask:0xf// 000000003D44: 0BEB0AFA FF0055FD
	v_mul_f32_dpp v246, v253, v134 quad_perm:[2,2,2,2] row_mask:0xf bank_mask:0xf// 000000003D4C: 0BED0CFA FF00AAFD
	v_mul_f32_dpp v247, v253, v135 quad_perm:[3,3,3,3] row_mask:0xf bank_mask:0xf// 000000003D54: 0BEF0EFA FF00FFFD
	v_mov_b32_e32 v62, 0x358637bd                              // 000000003D5C: 7E7C02FF 358637BD
	v_max3_f32 v62, |v240|, |v241|, v62                        // 000000003D64: D1D3033E 04FBE3F0
	v_max3_f32 v62, |v242|, |v243|, v62                        // 000000003D6C: D1D3033E 04FBE7F2
	v_max3_f32 v62, |v244|, |v245|, v62                        // 000000003D74: D1D3033E 04FBEBF4
	v_max3_f32 v62, |v246|, |v247|, v62                        // 000000003D7C: D1D3033E 04FBEFF6
	buffer_load_dwordx4 a[108:111], v40, s[20:23], 0 offen     // 000000003D84: E05C1000 80856C28
	ds_write_b32 v11, v62 offset:20992                         // 000000003D8C: D81A5200 00003E0B
	v_sub_f32_e32 v63, v14, v18                                // 000000003D94: 047E250E
	v_cndmask_b32_e64 v63, v63, 0, s[40:41]                    // 000000003D98: D100003F 00A1013F
	v_mov_b32_e32 v14, v18                                     // 000000003DA0: 7E1C0312
	v_mul_f32_e32 v63, s64, v63                                // 000000003DA4: 0A7E7E40
	v_exp_f32_e32 v63, v63                                     // 000000003DA8: 7E7E413F
	s_waitcnt lgkmcnt(0)                                       // 000000003DAC: BF8CC07F
	s_barrier                                                  // 000000003DB0: BF8A0000
	ds_read_b32 v80, v10 offset:20992                          // 000000003DB4: D86C5200 5000000A
	ds_read_b32 v81, v10 offset:21056                          // 000000003DBC: D86C5240 5100000A
	ds_read_b32 v82, v10 offset:21120                          // 000000003DC4: D86C5280 5200000A
	ds_read_b32 v83, v10 offset:21184                          // 000000003DCC: D86C52C0 5300000A
	ds_read_b32 v84, v10 offset:21248                          // 000000003DD4: D86C5300 5400000A
	ds_read_b32 v85, v10 offset:21312                          // 000000003DDC: D86C5340 5500000A
	ds_read_b32 v86, v10 offset:21376                          // 000000003DE4: D86C5380 5600000A
	ds_read_b32 v87, v10 offset:21440                          // 000000003DEC: D86C53C0 5700000A
	ds_read_b32 v88, v10 offset:21504                          // 000000003DF4: D86C5400 5800000A
	ds_read_b32 v89, v10 offset:21568                          // 000000003DFC: D86C5440 5900000A
	ds_read_b32 v90, v10 offset:21632                          // 000000003E04: D86C5480 5A00000A
	ds_read_b32 v91, v10 offset:21696                          // 000000003E0C: D86C54C0 5B00000A
	ds_read_b32 v92, v10 offset:21760                          // 000000003E14: D86C5500 5C00000A
	ds_read_b32 v93, v10 offset:21824                          // 000000003E1C: D86C5540 5D00000A
	ds_read_b32 v94, v10 offset:21888                          // 000000003E24: D86C5580 5E00000A
	ds_read_b32 v95, v10 offset:21952                          // 000000003E2C: D86C55C0 5F00000A
	v_mul_f32_e32 v47, v63, v47                                // 000000003E34: 0A5E5F3F
	v_mov_b32_e32 v51, v128                                    // 000000003E38: 7E660380
	v_add_f32_e32 v51, v129, v51                               // 000000003E3C: 02666781
	v_add_f32_e32 v51, v130, v51                               // 000000003E40: 02666782
	v_add_f32_e32 v51, v131, v51                               // 000000003E44: 02666783
	v_add_f32_e32 v51, v132, v51                               // 000000003E48: 02666784
	v_add_f32_e32 v51, v133, v51                               // 000000003E4C: 02666785
	v_add_f32_e32 v51, v134, v51                               // 000000003E50: 02666786
	v_add_f32_e32 v51, v135, v51                               // 000000003E54: 02666787
	v_add_f32_e32 v47, v51, v47                                // 000000003E58: 025E5F33
	s_waitcnt lgkmcnt(0)                                       // 000000003E5C: BF8CC07F
	v_max3_f32 v62, |v80|, |v81|, v62                          // 000000003E60: D1D3033E 04FAA350
	v_max3_f32 v62, |v82|, |v83|, v62                          // 000000003E68: D1D3033E 04FAA752
	v_max3_f32 v62, |v84|, |v85|, v62                          // 000000003E70: D1D3033E 04FAAB54
	v_max3_f32 v62, |v86|, |v87|, v62                          // 000000003E78: D1D3033E 04FAAF56
	v_max3_f32 v62, |v88|, |v89|, v62                          // 000000003E80: D1D3033E 04FAB358
	v_max3_f32 v62, |v90|, |v91|, v62                          // 000000003E88: D1D3033E 04FAB75A
	v_max3_f32 v62, |v92|, |v93|, v62                          // 000000003E90: D1D3033E 04FABB5C
	v_max3_f32 v62, |v94|, |v95|, v62                          // 000000003E98: D1D3033E 04FABF5E
	s_nop 2                                                    // 000000003EA0: BF800002
	v_mov_b32_dpp v41, v62 row_ror:8 row_mask:0xf bank_mask:0xf// 000000003EA4: 7E5202FA FF01283E
	v_max_f32_e32 v62, v62, v41                                // 000000003EAC: 167C533E
	v_rcp_f32_e32 v62, v62                                     // 000000003EB0: 7E7C453E
	s_nop 1                                                    // 000000003EB4: BF800001
	v_mul_f32_e32 v62, 0x43e00000, v62                         // 000000003EB8: 0A7C7CFF 43E00000
	v_mul_f32_e32 v128, v62, v240                              // 000000003EC0: 0B01E13E
	v_mul_f32_e32 v129, v62, v241                              // 000000003EC4: 0B03E33E
	v_mul_f32_e32 v130, v62, v242                              // 000000003EC8: 0B05E53E
	v_mul_f32_e32 v131, v62, v243                              // 000000003ECC: 0B07E73E
	v_mul_f32_e32 v132, v62, v244                              // 000000003ED0: 0B09E93E
	v_mul_f32_e32 v133, v62, v245                              // 000000003ED4: 0B0BEB3E
	v_mul_f32_e32 v134, v62, v246                              // 000000003ED8: 0B0DED3E
	v_mul_f32_e32 v135, v62, v247                              // 000000003EDC: 0B0FEF3E
	v_cvt_pk_fp8_f32 v128, v128, v129                          // 000000003EE0: D2A20080 00030380
	v_cvt_pk_fp8_f32 v128, v130, v131 op_sel:[0,0,1]           // 000000003EE8: D2A24080 00030782
	v_cvt_pk_fp8_f32 v129, v132, v133                          // 000000003EF0: D2A20081 00030B84
	v_cvt_pk_fp8_f32 v129, v134, v135 op_sel:[0,0,1]           // 000000003EF8: D2A24081 00030F86
	ds_write_b32 v13, v128 offset:25088                        // 000000003F00: D81A6200 0000800D
	ds_write_b32 v13, v129 offset:26112                        // 000000003F08: D81A6600 0000810D
	v_mul_f32_e32 v192, v58, v192                              // 000000003F10: 0B81813A
	v_mul_f32_e32 v193, v58, v193                              // 000000003F14: 0B83833A
	v_mul_f32_e32 v194, v58, v194                              // 000000003F18: 0B85853A
	v_mul_f32_e32 v195, v58, v195                              // 000000003F1C: 0B87873A
	v_rcp_f32_e32 v58, v62                                     // 000000003F20: 7E74453E
	s_waitcnt lgkmcnt(0)                                       // 000000003F24: BF8CC07F
	s_barrier                                                  // 000000003F28: BF8A0000
	ds_read_b64 v[128:129], v12 offset:25088                   // 000000003F2C: D8EC6200 8000000C
	ds_read_b64 v[130:131], v12 offset:25216                   // 000000003F34: D8EC6280 8200000C
	ds_read_b64 v[132:133], v12 offset:26112                   // 000000003F3C: D8EC6600 8400000C
	ds_read_b64 v[134:135], v12 offset:26240                   // 000000003F44: D8EC6680 8600000C
	v_add_f32_e32 v224, v224, v192                             // 000000003F4C: 03C181E0
	v_add_f32_e32 v225, v225, v193                             // 000000003F50: 03C383E1
	v_add_f32_e32 v226, v226, v194                             // 000000003F54: 03C585E2
	v_add_f32_e32 v227, v227, v195                             // 000000003F58: 03C787E3
	s_waitcnt lgkmcnt(3)                                       // 000000003F5C: BF8CC37F
	v_mov_b32_dpp v136, v128 row_shl:8 row_mask:0xf bank_mask:0xf bound_ctrl:1// 000000003F60: 7F1002FA FF090880
	v_and_b32_e32 v128, v128, v9                               // 000000003F68: 27001380
	v_mov_b32_dpp v137, v129 row_shl:8 row_mask:0xf bank_mask:0xf bound_ctrl:1// 000000003F6C: 7F1202FA FF090881
	v_and_b32_e32 v129, v129, v9                               // 000000003F74: 27021381
	s_waitcnt lgkmcnt(2)                                       // 000000003F78: BF8CC27F
	v_mov_b32_dpp v138, v130 row_shl:8 row_mask:0xf bank_mask:0xf bound_ctrl:1// 000000003F7C: 7F1402FA FF090882
	v_and_b32_e32 v130, v130, v9                               // 000000003F84: 27041382
	v_mov_b32_dpp v139, v131 row_shl:8 row_mask:0xf bank_mask:0xf bound_ctrl:1// 000000003F88: 7F1602FA FF090883
	v_and_b32_e32 v131, v131, v9                               // 000000003F90: 27061383
	s_waitcnt lgkmcnt(1)                                       // 000000003F94: BF8CC17F
	v_mov_b32_dpp v140, v132 row_shl:8 row_mask:0xf bank_mask:0xf bound_ctrl:1// 000000003F98: 7F1802FA FF090884
	v_and_b32_e32 v132, v132, v9                               // 000000003FA0: 27081384
	v_mov_b32_dpp v141, v133 row_shl:8 row_mask:0xf bank_mask:0xf bound_ctrl:1// 000000003FA4: 7F1A02FA FF090885
	v_and_b32_e32 v133, v133, v9                               // 000000003FAC: 270A1385
	s_waitcnt lgkmcnt(0)                                       // 000000003FB0: BF8CC07F
	v_mov_b32_dpp v142, v134 row_shl:8 row_mask:0xf bank_mask:0xf bound_ctrl:1// 000000003FB4: 7F1C02FA FF090886
	v_and_b32_e32 v134, v134, v9                               // 000000003FBC: 270C1386
	v_mov_b32_dpp v143, v135 row_shl:8 row_mask:0xf bank_mask:0xf bound_ctrl:1// 000000003FC0: 7F1E02FA FF090887
	v_and_b32_e32 v135, v135, v9                               // 000000003FC8: 270E1387
	s_waitcnt vmcnt(15)                                        // 000000003FCC: BF8C0F7F
	v_mfma_f32_16x16x32_fp8_fp8 v[192:195], a[64:65], v[128:129], 0// 000000003FD0: D3F300C0 0A030140
	buffer_load_dwordx4 a[112:115], v37, s[20:23], 0 offen offset:1024// 000000003FD8: E05C1400 80857025
	v_mfma_f32_16x16x32_fp8_fp8 v[192:195], a[66:67], v[130:131], v[192:195]// 000000003FE0: D3F300C0 0F030542
	v_mfma_f32_16x16x32_fp8_fp8 v[192:195], a[68:69], v[132:133], v[192:195]// 000000003FE8: D3F300C0 0F030944
	v_mfma_f32_16x16x32_fp8_fp8 v[192:195], a[70:71], v[134:135], v[192:195]// 000000003FF0: D3F300C0 0F030D46
	v_mfma_f32_16x16x32_fp8_fp8 v[192:195], a[72:73], v[136:137], v[192:195]// 000000003FF8: D3F300C0 0F031148
	buffer_load_dwordx4 a[116:119], v38, s[20:23], 0 offen offset:1024// 000000004000: E05C1400 80857426
	v_mfma_f32_16x16x32_fp8_fp8 v[192:195], a[74:75], v[138:139], v[192:195]// 000000004008: D3F300C0 0F03154A
	v_mfma_f32_16x16x32_fp8_fp8 v[192:195], a[76:77], v[140:141], v[192:195]// 000000004010: D3F300C0 0F03194C
	v_mfma_f32_16x16x32_fp8_fp8 v[192:195], a[78:79], v[142:143], v[192:195]// 000000004018: D3F300C0 0F031D4E
	v_mfma_f32_16x16x32_fp8_fp8 v[196:199], a[80:81], v[128:129], 0// 000000004020: D3F300C4 0A030150
	buffer_load_dwordx4 a[120:123], v39, s[20:23], 0 offen offset:1024// 000000004028: E05C1400 80857827
	v_mfma_f32_16x16x32_fp8_fp8 v[196:199], a[82:83], v[130:131], v[196:199]// 000000004030: D3F300C4 0F130552
	v_mfma_f32_16x16x32_fp8_fp8 v[196:199], a[84:85], v[132:133], v[196:199]// 000000004038: D3F300C4 0F130954
	v_mfma_f32_16x16x32_fp8_fp8 v[196:199], a[86:87], v[134:135], v[196:199]// 000000004040: D3F300C4 0F130D56
	v_mfma_f32_16x16x32_fp8_fp8 v[196:199], a[88:89], v[136:137], v[196:199]// 000000004048: D3F300C4 0F131158
	buffer_load_dwordx4 a[124:127], v40, s[20:23], 0 offen offset:1024// 000000004050: E05C1400 80857C28
	v_mfma_f32_16x16x32_fp8_fp8 v[196:199], a[90:91], v[138:139], v[196:199]// 000000004058: D3F300C4 0F13155A
	v_mfma_f32_16x16x32_fp8_fp8 v[196:199], a[92:93], v[140:141], v[196:199]// 000000004060: D3F300C4 0F13195C
	s_lshr_b32 s57, s70, 4                                     // 000000004068: 8F398446
	s_add_u32 s57, 48, s57                                     // 00000000406C: 803939B0
	v_mfma_f32_16x16x32_fp8_fp8 v[196:199], a[94:95], v[142:143], v[196:199]// 000000004070: D3F300C4 0F131D5E
	s_cmp_ge_u32 s57, s73                                      // 000000004078: BF094939
	s_cselect_b32 s56, 0, s56                                  // 00000000407C: 85383880
	v_add_u32_e32 v1, s56, v1                                  // 000000004080: 68020238
	s_addk_i32 s70, 0x100                                      // 000000004084: B7460100
	s_cmp_lt_i32 s70, s71                                      // 000000004088: BF044746
	s_cbranch_scc0 label_05C7                                  // 00000000408C: BF84FE23
	s_waitcnt vmcnt(8) lgkmcnt(0)                              // 000000004090: BF8C0078
	v_mul_u32_u24_dpp v41, v19, v68 row_newbcast:0 row_mask:0xf bank_mask:0xf// 000000004094: 105288FA FF015013
	v_mul_u32_u24_dpp v42, v19, v68 row_newbcast:4 row_mask:0xf bank_mask:0xf// 00000000409C: 105488FA FF015413
	v_mul_u32_u24_dpp v43, v19, v68 row_newbcast:8 row_mask:0xf bank_mask:0xf// 0000000040A4: 105688FA FF015813
	v_mul_u32_u24_dpp v44, v19, v68 row_newbcast:12 row_mask:0xf bank_mask:0xf// 0000000040AC: 105888FA FF015C13
	v_add_u32_e32 v25, v41, v6                                 // 0000000040B4: 68320D29
	v_add_u32_e32 v26, v42, v6                                 // 0000000040B8: 68340D2A
	v_add_u32_e32 v27, v43, v6                                 // 0000000040BC: 68360D2B
	v_add_u32_e32 v28, v44, v6                                 // 0000000040C0: 68380D2C
	v_mul_u32_u24_dpp v41, v19, v78 quad_perm:[0,0,0,0] row_mask:0xf bank_mask:0xf// 0000000040C4: 10529CFA FF000013
	v_add_u32_e32 v2, v41, v74                                 // 0000000040CC: 68049529
	v_mul_u32_u24_dpp v41, v19, v78 quad_perm:[0,0,0,0] row_mask:0xf bank_mask:0xf// 0000000040D0: 10529CFA FF000013
	v_add_u32_e32 v70, v41, v75                                // 0000000040D8: 688C9729
	v_mfma_f32_16x16x32_fp8_fp8 v[128:131], a[32:33], v[96:97], 0// 0000000040DC: D3F30080 0A02C120
	buffer_load_dwordx4 a[0:3], v25, s[16:19], 0 offen         // 0000000040E4: E05C1000 80840019
	v_mfma_f32_16x16x32_fp8_fp8 v[128:131], a[34:35], v[98:99], v[128:131]// 0000000040EC: D3F30080 0E02C522
	v_mfma_f32_16x16x32_fp8_fp8 v[128:131], a[36:37], v[100:101], v[128:131]// 0000000040F4: D3F30080 0E02C924
	buffer_load_dword v20, v1, s[24:27], 0 offen               // 0000000040FC: E0501000 80061401
	v_mfma_f32_16x16x32_fp8_fp8 v[128:131], a[38:39], v[102:103], v[128:131]// 000000004104: D3F30080 0E02CD26
	v_mfma_f32_16x16x32_fp8_fp8 v[132:135], a[40:41], v[96:97], 0// 00000000410C: D3F30084 0A02C128
	buffer_load_dwordx4 a[4:7], v25, s[16:19], 0 offen offset:1024// 000000004114: E05C1400 80840419
	v_mfma_f32_16x16x32_fp8_fp8 v[132:135], a[42:43], v[98:99], v[132:135]// 00000000411C: D3F30084 0E12C52A
	v_mfma_f32_16x16x32_fp8_fp8 v[132:135], a[44:45], v[100:101], v[132:135]// 000000004124: D3F30084 0E12C92C
	v_mfma_f32_16x16x32_fp8_fp8 v[132:135], a[46:47], v[102:103], v[132:135]// 00000000412C: D3F30084 0E12CD2E
	v_mfma_f32_16x16x32_fp8_fp8 v[136:139], a[48:49], v[96:97], 0// 000000004134: D3F30088 0A02C130
	buffer_load_dwordx4 a[8:11], v26, s[16:19], 0 offen        // 00000000413C: E05C1000 8084081A
	v_mfma_f32_16x16x32_fp8_fp8 v[136:139], a[50:51], v[98:99], v[136:139]// 000000004144: D3F30088 0E22C532
	v_mfma_f32_16x16x32_fp8_fp8 v[136:139], a[52:53], v[100:101], v[136:139]// 00000000414C: D3F30088 0E22C934
	v_mfma_f32_16x16x32_fp8_fp8 v[136:139], a[54:55], v[102:103], v[136:139]// 000000004154: D3F30088 0E22CD36
	v_mfma_f32_16x16x32_fp8_fp8 v[140:143], a[56:57], v[96:97], 0// 00000000415C: D3F3008C 0A02C138
	buffer_load_dwordx4 a[12:15], v26, s[16:19], 0 offen offset:1024// 000000004164: E05C1400 80840C1A
	v_mfma_f32_16x16x32_fp8_fp8 v[140:143], a[58:59], v[98:99], v[140:143]// 00000000416C: D3F3008C 0E32C53A
	v_mfma_f32_16x16x32_fp8_fp8 v[140:143], a[60:61], v[100:101], v[140:143]// 000000004174: D3F3008C 0E32C93C
	v_mfma_f32_16x16x32_fp8_fp8 v[140:143], a[62:63], v[102:103], v[140:143]// 00000000417C: D3F3008C 0E32CD3E
	buffer_load_dword v52, v2, s[32:35], 0 offen               // 000000004184: E0501000 80083402
	v_mov_b32_dpp v41, v53 row_shr:4 row_mask:0xf bank_mask:0xf// 00000000418C: 7E5202FA FF011435
	v_mov_b32_dpp v42, v53 row_shl:4 row_mask:0xf bank_mask:0xf// 000000004194: 7E5402FA FF010435
	v_cndmask_b32_e64 v248, v53, v41, s[44:45]                 // 00000000419C: D10000F8 00B25335
	v_cndmask_b32_e64 v249, v42, v53, s[44:45]                 // 0000000041A4: D10000F9 00B26B2A
	v_mov_b32_dpp v41, v73 row_shr:4 row_mask:0xf bank_mask:0xf// 0000000041AC: 7E5202FA FF011449
	v_mov_b32_dpp v42, v73 row_shl:4 row_mask:0xf bank_mask:0xf// 0000000041B4: 7E5402FA FF010449
	v_cndmask_b32_e64 v252, v73, v41, s[44:45]                 // 0000000041BC: D10000FC 00B25349
	v_cndmask_b32_e64 v253, v42, v73, s[44:45]                 // 0000000041C4: D10000FD 00B2932A
	v_or_b32_dpp v128, v136, v128 row_shr:8 row_mask:0xf bank_mask:0xf bound_ctrl:1// 0000000041CC: 290100FA FF091888
	v_or_b32_dpp v129, v137, v129 row_shr:8 row_mask:0xf bank_mask:0xf bound_ctrl:1// 0000000041D4: 290302FA FF091889
	v_or_b32_dpp v130, v138, v130 row_shr:8 row_mask:0xf bank_mask:0xf bound_ctrl:1// 0000000041DC: 290504FA FF09188A
	v_or_b32_dpp v131, v139, v131 row_shr:8 row_mask:0xf bank_mask:0xf bound_ctrl:1// 0000000041E4: 290706FA FF09188B
	v_or_b32_dpp v132, v140, v132 row_shr:8 row_mask:0xf bank_mask:0xf bound_ctrl:1// 0000000041EC: 290908FA FF09188C
	v_or_b32_dpp v133, v141, v133 row_shr:8 row_mask:0xf bank_mask:0xf bound_ctrl:1// 0000000041F4: 290B0AFA FF09188D
	v_or_b32_dpp v134, v142, v134 row_shr:8 row_mask:0xf bank_mask:0xf bound_ctrl:1// 0000000041FC: 290D0CFA FF09188E
	v_or_b32_dpp v135, v143, v135 row_shr:8 row_mask:0xf bank_mask:0xf bound_ctrl:1// 000000004204: 290F0EFA FF09188F
	buffer_load_dword v72, v70, s[36:39], 0 offen              // 00000000420C: E0501000 80094846
	v_mul_f32_e32 v128, v54, v128                              // 000000004214: 0B010136
	v_mul_f32_e32 v129, v54, v129                              // 000000004218: 0B030336
	v_mul_f32_e32 v130, v54, v130                              // 00000000421C: 0B050536
	v_mul_f32_e32 v131, v54, v131                              // 000000004220: 0B070736
	v_mul_f32_e32 v132, v54, v132                              // 000000004224: 0B090936
	v_mul_f32_e32 v133, v54, v133                              // 000000004228: 0B0B0B36
	v_mul_f32_e32 v134, v54, v134                              // 00000000422C: 0B0D0D36
	v_mul_f32_e32 v135, v54, v135                              // 000000004230: 0B0F0F36
	buffer_load_dwordx4 a[16:19], v27, s[16:19], 0 offen       // 000000004234: E05C1000 8084101B
	v_mul_f32_dpp v128, v248, v128 quad_perm:[0,0,0,0] row_mask:0xf bank_mask:0xf// 00000000423C: 0B0100FA FF0000F8
	v_mul_f32_dpp v129, v248, v129 quad_perm:[1,1,1,1] row_mask:0xf bank_mask:0xf// 000000004244: 0B0302FA FF0055F8
	v_mul_f32_dpp v130, v248, v130 quad_perm:[2,2,2,2] row_mask:0xf bank_mask:0xf// 00000000424C: 0B0504FA FF00AAF8
	v_mul_f32_dpp v131, v248, v131 quad_perm:[3,3,3,3] row_mask:0xf bank_mask:0xf// 000000004254: 0B0706FA FF00FFF8
	v_mul_f32_dpp v132, v249, v132 quad_perm:[0,0,0,0] row_mask:0xf bank_mask:0xf// 00000000425C: 0B0908FA FF0000F9
	v_mul_f32_dpp v133, v249, v133 quad_perm:[1,1,1,1] row_mask:0xf bank_mask:0xf// 000000004264: 0B0B0AFA FF0055F9
	v_mul_f32_dpp v134, v249, v134 quad_perm:[2,2,2,2] row_mask:0xf bank_mask:0xf// 00000000426C: 0B0D0CFA FF00AAF9
	v_mul_f32_dpp v135, v249, v135 quad_perm:[3,3,3,3] row_mask:0xf bank_mask:0xf// 000000004274: 0B0F0EFA FF00FFF9
	buffer_load_dwordx4 a[20:23], v27, s[16:19], 0 offen offset:1024// 00000000427C: E05C1400 8084141B
	v_mov_b32_e32 v62, v128                                    // 000000004284: 7E7C0380
	v_max3_f32 v62, v128, v129, v62                            // 000000004288: D1D3003E 04FB0380
	v_max3_f32 v62, v130, v131, v62                            // 000000004290: D1D3003E 04FB0782
	v_max3_f32 v62, v132, v133, v62                            // 000000004298: D1D3003E 04FB0B84
	v_max3_f32 v62, v134, v135, v62                            // 0000000042A0: D1D3003E 04FB0F86
	ds_write_b32 v11, v62 offset:16896                         // 0000000042A8: D81A4200 00003E0B
	buffer_load_dwordx4 a[24:27], v28, s[16:19], 0 offen       // 0000000042B0: E05C1000 8084181C
	v_mul_u32_u24_dpp v41, v19, v68 row_newbcast:1 row_mask:0xf bank_mask:0xf// 0000000042B8: 105288FA FF015113
	v_mul_u32_u24_dpp v42, v19, v68 row_newbcast:5 row_mask:0xf bank_mask:0xf// 0000000042C0: 105488FA FF015513
	v_mul_u32_u24_dpp v43, v19, v68 row_newbcast:9 row_mask:0xf bank_mask:0xf// 0000000042C8: 105688FA FF015913
	v_mul_u32_u24_dpp v44, v19, v68 row_newbcast:13 row_mask:0xf bank_mask:0xf// 0000000042D0: 105888FA FF015D13
	v_add_u32_e32 v33, v41, v7                                 // 0000000042D8: 68420F29
	v_add_u32_e32 v34, v42, v7                                 // 0000000042DC: 68440F2A
	v_add_u32_e32 v35, v43, v7                                 // 0000000042E0: 68460F2B
	v_add_u32_e32 v36, v44, v7                                 // 0000000042E4: 68480F2C
	s_waitcnt lgkmcnt(0)                                       // 0000000042E8: BF8CC07F
	s_barrier                                                  // 0000000042EC: BF8A0000
	ds_read_b32 v80, v10 offset:16896                          // 0000000042F0: D86C4200 5000000A
	ds_read_b32 v81, v10 offset:16960                          // 0000000042F8: D86C4240 5100000A
	ds_read_b32 v82, v10 offset:17024                          // 000000004300: D86C4280 5200000A
	ds_read_b32 v83, v10 offset:17088                          // 000000004308: D86C42C0 5300000A
	ds_read_b32 v84, v10 offset:17152                          // 000000004310: D86C4300 5400000A
	ds_read_b32 v85, v10 offset:17216                          // 000000004318: D86C4340 5500000A
	ds_read_b32 v86, v10 offset:17280                          // 000000004320: D86C4380 5600000A
	ds_read_b32 v87, v10 offset:17344                          // 000000004328: D86C43C0 5700000A
	ds_read_b32 v88, v10 offset:17408                          // 000000004330: D86C4400 5800000A
	ds_read_b32 v89, v10 offset:17472                          // 000000004338: D86C4440 5900000A
	ds_read_b32 v90, v10 offset:17536                          // 000000004340: D86C4480 5A00000A
	ds_read_b32 v91, v10 offset:17600                          // 000000004348: D86C44C0 5B00000A
	ds_read_b32 v92, v10 offset:17664                          // 000000004350: D86C4500 5C00000A
	ds_read_b32 v93, v10 offset:17728                          // 000000004358: D86C4540 5D00000A
	ds_read_b32 v94, v10 offset:17792                          // 000000004360: D86C4580 5E00000A
	ds_read_b32 v95, v10 offset:17856                          // 000000004368: D86C45C0 5F00000A
	buffer_load_dwordx4 a[28:31], v28, s[16:19], 0 offen offset:1024// 000000004370: E05C1400 80841C1C
	v_mul_f32_e32 v224, v63, v224                              // 000000004378: 0BC1C13F
	v_mul_f32_e32 v225, v63, v225                              // 00000000437C: 0BC3C33F
	v_mul_f32_e32 v226, v63, v226                              // 000000004380: 0BC5C53F
	v_mul_f32_e32 v227, v63, v227                              // 000000004384: 0BC7C73F
	v_or_b32_dpp v192, v196, v192 row_shr:8 row_mask:0xf bank_mask:0xf bound_ctrl:1// 000000004388: 298180FA FF0918C4
	v_or_b32_dpp v193, v197, v193 row_shr:8 row_mask:0xf bank_mask:0xf bound_ctrl:1// 000000004390: 298382FA FF0918C5
	v_or_b32_dpp v194, v198, v194 row_shr:8 row_mask:0xf bank_mask:0xf bound_ctrl:1// 000000004398: 298584FA FF0918C6
	v_or_b32_dpp v195, v199, v195 row_shr:8 row_mask:0xf bank_mask:0xf bound_ctrl:1// 0000000043A0: 298786FA FF0918C7
	s_waitcnt lgkmcnt(0)                                       // 0000000043A8: BF8CC07F
	v_max3_f32 v62, v80, v81, v62                              // 0000000043AC: D1D3003E 04FAA350
	v_max3_f32 v62, v82, v83, v62                              // 0000000043B4: D1D3003E 04FAA752
	v_max3_f32 v62, v84, v85, v62                              // 0000000043BC: D1D3003E 04FAAB54
	v_max3_f32 v62, v86, v87, v62                              // 0000000043C4: D1D3003E 04FAAF56
	v_max3_f32 v62, v88, v89, v62                              // 0000000043CC: D1D3003E 04FAB358
	v_max3_f32 v62, v90, v91, v62                              // 0000000043D4: D1D3003E 04FAB75A
	v_max3_f32 v62, v92, v93, v62                              // 0000000043DC: D1D3003E 04FABB5C
	v_max3_f32 v62, v94, v95, v62                              // 0000000043E4: D1D3003E 04FABF5E
	buffer_load_dwordx4 a[64:67], v33, s[20:23], 0 offen       // 0000000043EC: E05C1000 80854021
	v_cmp_eq_u32_e64 s[40:41], v69, v14                        // 0000000043F4: D0CA0028 00021D45
	s_nop 1                                                    // 0000000043FC: BF800001
	v_mov_b32_dpp v41, v62 row_ror:8 row_mask:0xf bank_mask:0xf// 000000004400: 7E5202FA FF01283E
	v_max_f32_e32 v62, v62, v41                                // 000000004408: 167C533E
	v_max_f32_e32 v18, v62, v14                                // 00000000440C: 16241D3E
	v_mul_f32_e32 v67, s64, v18                                // 000000004410: 0A862440
	v_fma_f32 v128, v128, s64, -v67                            // 000000004414: D1CB0080 850C8180
	v_fma_f32 v129, v129, s64, -v67                            // 00000000441C: D1CB0081 850C8181
	v_fma_f32 v130, v130, s64, -v67                            // 000000004424: D1CB0082 850C8182
	v_fma_f32 v131, v131, s64, -v67                            // 00000000442C: D1CB0083 850C8183
	v_fma_f32 v132, v132, s64, -v67                            // 000000004434: D1CB0084 850C8184
	v_fma_f32 v133, v133, s64, -v67                            // 00000000443C: D1CB0085 850C8185
	v_fma_f32 v134, v134, s64, -v67                            // 000000004444: D1CB0086 850C8186
	v_fma_f32 v135, v135, s64, -v67                            // 00000000444C: D1CB0087 850C8187
	buffer_load_dwordx4 a[68:71], v34, s[20:23], 0 offen       // 000000004454: E05C1000 80854422
	v_exp_f32_e32 v128, v128                                   // 00000000445C: 7F004180
	v_exp_f32_e32 v129, v129                                   // 000000004460: 7F024181
	v_exp_f32_e32 v130, v130                                   // 000000004464: 7F044182
	v_exp_f32_e32 v131, v131                                   // 000000004468: 7F064183
	v_exp_f32_e32 v132, v132                                   // 00000000446C: 7F084184
	v_exp_f32_e32 v133, v133                                   // 000000004470: 7F0A4185
	v_exp_f32_e32 v134, v134                                   // 000000004474: 7F0C4186
	v_exp_f32_e32 v135, v135                                   // 000000004478: 7F0E4187
	buffer_load_dwordx4 a[72:75], v35, s[20:23], 0 offen       // 00000000447C: E05C1000 80854823
	v_mul_f32_dpp v240, v252, v128 quad_perm:[0,0,0,0] row_mask:0xf bank_mask:0xf// 000000004484: 0BE100FA FF0000FC
	v_mul_f32_dpp v241, v252, v129 quad_perm:[1,1,1,1] row_mask:0xf bank_mask:0xf// 00000000448C: 0BE302FA FF0055FC
	v_mul_f32_dpp v242, v252, v130 quad_perm:[2,2,2,2] row_mask:0xf bank_mask:0xf// 000000004494: 0BE504FA FF00AAFC
	v_mul_f32_dpp v243, v252, v131 quad_perm:[3,3,3,3] row_mask:0xf bank_mask:0xf// 00000000449C: 0BE706FA FF00FFFC
	v_mul_f32_dpp v244, v253, v132 quad_perm:[0,0,0,0] row_mask:0xf bank_mask:0xf// 0000000044A4: 0BE908FA FF0000FD
	v_mul_f32_dpp v245, v253, v133 quad_perm:[1,1,1,1] row_mask:0xf bank_mask:0xf// 0000000044AC: 0BEB0AFA FF0055FD
	v_mul_f32_dpp v246, v253, v134 quad_perm:[2,2,2,2] row_mask:0xf bank_mask:0xf// 0000000044B4: 0BED0CFA FF00AAFD
	v_mul_f32_dpp v247, v253, v135 quad_perm:[3,3,3,3] row_mask:0xf bank_mask:0xf// 0000000044BC: 0BEF0EFA FF00FFFD
	v_mov_b32_e32 v62, 0x358637bd                              // 0000000044C4: 7E7C02FF 358637BD
	v_max3_f32 v62, |v240|, |v241|, v62                        // 0000000044CC: D1D3033E 04FBE3F0
	v_max3_f32 v62, |v242|, |v243|, v62                        // 0000000044D4: D1D3033E 04FBE7F2
	v_max3_f32 v62, |v244|, |v245|, v62                        // 0000000044DC: D1D3033E 04FBEBF4
	v_max3_f32 v62, |v246|, |v247|, v62                        // 0000000044E4: D1D3033E 04FBEFF6
	buffer_load_dwordx4 a[76:79], v36, s[20:23], 0 offen       // 0000000044EC: E05C1000 80854C24
	ds_write_b32 v11, v62 offset:20992                         // 0000000044F4: D81A5200 00003E0B
	v_sub_f32_e32 v63, v14, v18                                // 0000000044FC: 047E250E
	v_cndmask_b32_e64 v63, v63, 0, s[40:41]                    // 000000004500: D100003F 00A1013F
	v_mov_b32_e32 v14, v18                                     // 000000004508: 7E1C0312
	v_mul_f32_e32 v63, s64, v63                                // 00000000450C: 0A7E7E40
	v_exp_f32_e32 v63, v63                                     // 000000004510: 7E7E413F
	s_waitcnt lgkmcnt(0)                                       // 000000004514: BF8CC07F
	s_barrier                                                  // 000000004518: BF8A0000
	ds_read_b32 v80, v10 offset:20992                          // 00000000451C: D86C5200 5000000A
	ds_read_b32 v81, v10 offset:21056                          // 000000004524: D86C5240 5100000A
	ds_read_b32 v82, v10 offset:21120                          // 00000000452C: D86C5280 5200000A
	ds_read_b32 v83, v10 offset:21184                          // 000000004534: D86C52C0 5300000A
	ds_read_b32 v84, v10 offset:21248                          // 00000000453C: D86C5300 5400000A
	ds_read_b32 v85, v10 offset:21312                          // 000000004544: D86C5340 5500000A
	ds_read_b32 v86, v10 offset:21376                          // 00000000454C: D86C5380 5600000A
	ds_read_b32 v87, v10 offset:21440                          // 000000004554: D86C53C0 5700000A
	ds_read_b32 v88, v10 offset:21504                          // 00000000455C: D86C5400 5800000A
	ds_read_b32 v89, v10 offset:21568                          // 000000004564: D86C5440 5900000A
	ds_read_b32 v90, v10 offset:21632                          // 00000000456C: D86C5480 5A00000A
	ds_read_b32 v91, v10 offset:21696                          // 000000004574: D86C54C0 5B00000A
	ds_read_b32 v92, v10 offset:21760                          // 00000000457C: D86C5500 5C00000A
	ds_read_b32 v93, v10 offset:21824                          // 000000004584: D86C5540 5D00000A
	ds_read_b32 v94, v10 offset:21888                          // 00000000458C: D86C5580 5E00000A
	ds_read_b32 v95, v10 offset:21952                          // 000000004594: D86C55C0 5F00000A
	v_mul_f32_e32 v47, v63, v47                                // 00000000459C: 0A5E5F3F
	v_mov_b32_e32 v51, v128                                    // 0000000045A0: 7E660380
	v_add_f32_e32 v51, v129, v51                               // 0000000045A4: 02666781
	v_add_f32_e32 v51, v130, v51                               // 0000000045A8: 02666782
	v_add_f32_e32 v51, v131, v51                               // 0000000045AC: 02666783
	v_add_f32_e32 v51, v132, v51                               // 0000000045B0: 02666784
	v_add_f32_e32 v51, v133, v51                               // 0000000045B4: 02666785
	v_add_f32_e32 v51, v134, v51                               // 0000000045B8: 02666786
	v_add_f32_e32 v51, v135, v51                               // 0000000045BC: 02666787
	v_add_f32_e32 v47, v51, v47                                // 0000000045C0: 025E5F33
	s_waitcnt lgkmcnt(0)                                       // 0000000045C4: BF8CC07F
	v_max3_f32 v62, |v80|, |v81|, v62                          // 0000000045C8: D1D3033E 04FAA350
	v_max3_f32 v62, |v82|, |v83|, v62                          // 0000000045D0: D1D3033E 04FAA752
	v_max3_f32 v62, |v84|, |v85|, v62                          // 0000000045D8: D1D3033E 04FAAB54
	v_max3_f32 v62, |v86|, |v87|, v62                          // 0000000045E0: D1D3033E 04FAAF56
	v_max3_f32 v62, |v88|, |v89|, v62                          // 0000000045E8: D1D3033E 04FAB358
	v_max3_f32 v62, |v90|, |v91|, v62                          // 0000000045F0: D1D3033E 04FAB75A
	v_max3_f32 v62, |v92|, |v93|, v62                          // 0000000045F8: D1D3033E 04FABB5C
	v_max3_f32 v62, |v94|, |v95|, v62                          // 000000004600: D1D3033E 04FABF5E
	s_nop 2                                                    // 000000004608: BF800002
	v_mov_b32_dpp v41, v62 row_ror:8 row_mask:0xf bank_mask:0xf// 00000000460C: 7E5202FA FF01283E
	v_max_f32_e32 v62, v62, v41                                // 000000004614: 167C533E
	v_rcp_f32_e32 v62, v62                                     // 000000004618: 7E7C453E
	s_nop 1                                                    // 00000000461C: BF800001
	v_mul_f32_e32 v62, 0x43e00000, v62                         // 000000004620: 0A7C7CFF 43E00000
	v_mul_f32_e32 v128, v62, v240                              // 000000004628: 0B01E13E
	v_mul_f32_e32 v129, v62, v241                              // 00000000462C: 0B03E33E
	v_mul_f32_e32 v130, v62, v242                              // 000000004630: 0B05E53E
	v_mul_f32_e32 v131, v62, v243                              // 000000004634: 0B07E73E
	v_mul_f32_e32 v132, v62, v244                              // 000000004638: 0B09E93E
	v_mul_f32_e32 v133, v62, v245                              // 00000000463C: 0B0BEB3E
	v_mul_f32_e32 v134, v62, v246                              // 000000004640: 0B0DED3E
	v_mul_f32_e32 v135, v62, v247                              // 000000004644: 0B0FEF3E
	v_cvt_pk_fp8_f32 v128, v128, v129                          // 000000004648: D2A20080 00030380
	v_cvt_pk_fp8_f32 v128, v130, v131 op_sel:[0,0,1]           // 000000004650: D2A24080 00030782
	v_cvt_pk_fp8_f32 v129, v132, v133                          // 000000004658: D2A20081 00030B84
	v_cvt_pk_fp8_f32 v129, v134, v135 op_sel:[0,0,1]           // 000000004660: D2A24081 00030F86
	ds_write_b32 v13, v128 offset:25088                        // 000000004668: D81A6200 0000800D
	ds_write_b32 v13, v129 offset:26112                        // 000000004670: D81A6600 0000810D
	v_mul_f32_e32 v192, v58, v192                              // 000000004678: 0B81813A
	v_mul_f32_e32 v193, v58, v193                              // 00000000467C: 0B83833A
	v_mul_f32_e32 v194, v58, v194                              // 000000004680: 0B85853A
	v_mul_f32_e32 v195, v58, v195                              // 000000004684: 0B87873A
	v_rcp_f32_e32 v58, v62                                     // 000000004688: 7E74453E
	s_waitcnt lgkmcnt(0)                                       // 00000000468C: BF8CC07F
	s_barrier                                                  // 000000004690: BF8A0000
	ds_read_b64 v[128:129], v12 offset:25088                   // 000000004694: D8EC6200 8000000C
	ds_read_b64 v[130:131], v12 offset:25216                   // 00000000469C: D8EC6280 8200000C
	ds_read_b64 v[132:133], v12 offset:26112                   // 0000000046A4: D8EC6600 8400000C
	ds_read_b64 v[134:135], v12 offset:26240                   // 0000000046AC: D8EC6680 8600000C
	v_add_f32_e32 v224, v224, v192                             // 0000000046B4: 03C181E0
	v_add_f32_e32 v225, v225, v193                             // 0000000046B8: 03C383E1
	v_add_f32_e32 v226, v226, v194                             // 0000000046BC: 03C585E2
	v_add_f32_e32 v227, v227, v195                             // 0000000046C0: 03C787E3
	s_waitcnt lgkmcnt(3)                                       // 0000000046C4: BF8CC37F
	v_mov_b32_dpp v136, v128 row_shl:8 row_mask:0xf bank_mask:0xf bound_ctrl:1// 0000000046C8: 7F1002FA FF090880
	v_and_b32_e32 v128, v128, v9                               // 0000000046D0: 27001380
	v_mov_b32_dpp v137, v129 row_shl:8 row_mask:0xf bank_mask:0xf bound_ctrl:1// 0000000046D4: 7F1202FA FF090881
	v_and_b32_e32 v129, v129, v9                               // 0000000046DC: 27021381
	s_waitcnt lgkmcnt(2)                                       // 0000000046E0: BF8CC27F
	v_mov_b32_dpp v138, v130 row_shl:8 row_mask:0xf bank_mask:0xf bound_ctrl:1// 0000000046E4: 7F1402FA FF090882
	v_and_b32_e32 v130, v130, v9                               // 0000000046EC: 27041382
	v_mov_b32_dpp v139, v131 row_shl:8 row_mask:0xf bank_mask:0xf bound_ctrl:1// 0000000046F0: 7F1602FA FF090883
	v_and_b32_e32 v131, v131, v9                               // 0000000046F8: 27061383
	s_waitcnt lgkmcnt(1)                                       // 0000000046FC: BF8CC17F
	v_mov_b32_dpp v140, v132 row_shl:8 row_mask:0xf bank_mask:0xf bound_ctrl:1// 000000004700: 7F1802FA FF090884
	v_and_b32_e32 v132, v132, v9                               // 000000004708: 27081384
	v_mov_b32_dpp v141, v133 row_shl:8 row_mask:0xf bank_mask:0xf bound_ctrl:1// 00000000470C: 7F1A02FA FF090885
	v_and_b32_e32 v133, v133, v9                               // 000000004714: 270A1385
	s_waitcnt lgkmcnt(0)                                       // 000000004718: BF8CC07F
	v_mov_b32_dpp v142, v134 row_shl:8 row_mask:0xf bank_mask:0xf bound_ctrl:1// 00000000471C: 7F1C02FA FF090886
	v_and_b32_e32 v134, v134, v9                               // 000000004724: 270C1386
	v_mov_b32_dpp v143, v135 row_shl:8 row_mask:0xf bank_mask:0xf bound_ctrl:1// 000000004728: 7F1E02FA FF090887
	v_and_b32_e32 v135, v135, v9                               // 000000004730: 270E1387
	s_waitcnt vmcnt(15)                                        // 000000004734: BF8C0F7F
	v_mfma_f32_16x16x32_fp8_fp8 v[192:195], a[96:97], v[128:129], 0// 000000004738: D3F300C0 0A030160
	buffer_load_dwordx4 a[80:83], v33, s[20:23], 0 offen offset:1024// 000000004740: E05C1400 80855021
	v_mfma_f32_16x16x32_fp8_fp8 v[192:195], a[98:99], v[130:131], v[192:195]// 000000004748: D3F300C0 0F030562
	v_mfma_f32_16x16x32_fp8_fp8 v[192:195], a[100:101], v[132:133], v[192:195]// 000000004750: D3F300C0 0F030964
	v_mfma_f32_16x16x32_fp8_fp8 v[192:195], a[102:103], v[134:135], v[192:195]// 000000004758: D3F300C0 0F030D66
	v_mfma_f32_16x16x32_fp8_fp8 v[192:195], a[104:105], v[136:137], v[192:195]// 000000004760: D3F300C0 0F031168
	buffer_load_dwordx4 a[84:87], v34, s[20:23], 0 offen offset:1024// 000000004768: E05C1400 80855422
	v_mfma_f32_16x16x32_fp8_fp8 v[192:195], a[106:107], v[138:139], v[192:195]// 000000004770: D3F300C0 0F03156A
	v_mfma_f32_16x16x32_fp8_fp8 v[192:195], a[108:109], v[140:141], v[192:195]// 000000004778: D3F300C0 0F03196C
	v_mfma_f32_16x16x32_fp8_fp8 v[192:195], a[110:111], v[142:143], v[192:195]// 000000004780: D3F300C0 0F031D6E
	v_mfma_f32_16x16x32_fp8_fp8 v[196:199], a[112:113], v[128:129], 0// 000000004788: D3F300C4 0A030170
	buffer_load_dwordx4 a[88:91], v35, s[20:23], 0 offen offset:1024// 000000004790: E05C1400 80855823
	v_mfma_f32_16x16x32_fp8_fp8 v[196:199], a[114:115], v[130:131], v[196:199]// 000000004798: D3F300C4 0F130572
	v_mfma_f32_16x16x32_fp8_fp8 v[196:199], a[116:117], v[132:133], v[196:199]// 0000000047A0: D3F300C4 0F130974
	v_mfma_f32_16x16x32_fp8_fp8 v[196:199], a[118:119], v[134:135], v[196:199]// 0000000047A8: D3F300C4 0F130D76
	v_mfma_f32_16x16x32_fp8_fp8 v[196:199], a[120:121], v[136:137], v[196:199]// 0000000047B0: D3F300C4 0F131178
	buffer_load_dwordx4 a[92:95], v36, s[20:23], 0 offen offset:1024// 0000000047B8: E05C1400 80855C24
	v_mfma_f32_16x16x32_fp8_fp8 v[196:199], a[122:123], v[138:139], v[196:199]// 0000000047C0: D3F300C4 0F13157A
	v_mfma_f32_16x16x32_fp8_fp8 v[196:199], a[124:125], v[140:141], v[196:199]// 0000000047C8: D3F300C4 0F13197C
	s_lshr_b32 s57, s70, 4                                     // 0000000047D0: 8F398446
	s_add_u32 s57, 48, s57                                     // 0000000047D4: 803939B0
	v_mfma_f32_16x16x32_fp8_fp8 v[196:199], a[126:127], v[142:143], v[196:199]// 0000000047D8: D3F300C4 0F131D7E
	s_cmp_ge_u32 s57, s73                                      // 0000000047E0: BF094939
	s_cselect_b32 s56, 0, s56                                  // 0000000047E4: 85383880
	v_add_u32_e32 v1, s56, v1                                  // 0000000047E8: 68020238
	s_addk_i32 s70, 0x100                                      // 0000000047EC: B7460100
	s_cmp_lt_i32 s70, s71                                      // 0000000047F0: BF044746
	s_cbranch_scc0 label_05C7                                  // 0000000047F4: BF84FC49
	s_branch label_05CA                                        // 0000000047F8: BF82FC4B

00000000000047fc <label_097F>:
	s_lshr_b32 s60, s71, 4                                     // 0000000047FC: 8F3C8447
	s_cmp_eq_i32 s60, s73                                      // 000000004800: BF00493C
	s_cbranch_scc1 label_0D40                                  // 000000004804: BF8503BE
	s_lshr_b32 s60, s71, 8                                     // 000000004808: 8F3C8847
	s_and_b32 s60, s60, 1                                      // 00000000480C: 863C813C
	s_cmp_eq_i32 s60, 1                                        // 000000004810: BF00813C
	s_cbranch_scc1 label_0B63                                  // 000000004814: BF8501DD
	s_waitcnt vmcnt(8) lgkmcnt(0)                              // 000000004818: BF8C0078
	s_barrier                                                  // 00000000481C: BF8A0000
	v_mfma_f32_16x16x32_fp8_fp8 v[128:131], a[0:1], v[96:97], 0// 000000004820: D3F30080 0A02C100
	v_mfma_f32_16x16x32_fp8_fp8 v[128:131], a[2:3], v[98:99], v[128:131]// 000000004828: D3F30080 0E02C502
	v_mfma_f32_16x16x32_fp8_fp8 v[128:131], a[4:5], v[100:101], v[128:131]// 000000004830: D3F30080 0E02C904
	v_mfma_f32_16x16x32_fp8_fp8 v[128:131], a[6:7], v[102:103], v[128:131]// 000000004838: D3F30080 0E02CD06
	v_mfma_f32_16x16x32_fp8_fp8 v[132:135], a[8:9], v[96:97], 0// 000000004840: D3F30084 0A02C108
	v_mfma_f32_16x16x32_fp8_fp8 v[132:135], a[10:11], v[98:99], v[132:135]// 000000004848: D3F30084 0E12C50A
	v_mfma_f32_16x16x32_fp8_fp8 v[132:135], a[12:13], v[100:101], v[132:135]// 000000004850: D3F30084 0E12C90C
	v_mfma_f32_16x16x32_fp8_fp8 v[132:135], a[14:15], v[102:103], v[132:135]// 000000004858: D3F30084 0E12CD0E
	v_mfma_f32_16x16x32_fp8_fp8 v[136:139], a[16:17], v[96:97], 0// 000000004860: D3F30088 0A02C110
	v_mfma_f32_16x16x32_fp8_fp8 v[136:139], a[18:19], v[98:99], v[136:139]// 000000004868: D3F30088 0E22C512
	v_mfma_f32_16x16x32_fp8_fp8 v[136:139], a[20:21], v[100:101], v[136:139]// 000000004870: D3F30088 0E22C914
	v_mfma_f32_16x16x32_fp8_fp8 v[136:139], a[22:23], v[102:103], v[136:139]// 000000004878: D3F30088 0E22CD16
	v_mfma_f32_16x16x32_fp8_fp8 v[140:143], a[24:25], v[96:97], 0// 000000004880: D3F3008C 0A02C118
	v_mfma_f32_16x16x32_fp8_fp8 v[140:143], a[26:27], v[98:99], v[140:143]// 000000004888: D3F3008C 0E32C51A
	v_mfma_f32_16x16x32_fp8_fp8 v[140:143], a[28:29], v[100:101], v[140:143]// 000000004890: D3F3008C 0E32C91C
	v_mfma_f32_16x16x32_fp8_fp8 v[140:143], a[30:31], v[102:103], v[140:143]// 000000004898: D3F3008C 0E32CD1E
	v_mov_b32_dpp v41, v52 row_shr:4 row_mask:0xf bank_mask:0xf// 0000000048A0: 7E5202FA FF011434
	v_mov_b32_dpp v42, v52 row_shl:4 row_mask:0xf bank_mask:0xf// 0000000048A8: 7E5402FA FF010434
	v_cndmask_b32_e64 v248, v52, v41, s[44:45]                 // 0000000048B0: D10000F8 00B25334
	v_cndmask_b32_e64 v249, v42, v52, s[44:45]                 // 0000000048B8: D10000F9 00B2692A
	v_mov_b32_dpp v41, v72 row_shr:4 row_mask:0xf bank_mask:0xf// 0000000048C0: 7E5202FA FF011448
	v_mov_b32_dpp v42, v72 row_shl:4 row_mask:0xf bank_mask:0xf// 0000000048C8: 7E5402FA FF010448
	v_cndmask_b32_e64 v252, v72, v41, s[44:45]                 // 0000000048D0: D10000FC 00B25348
	v_cndmask_b32_e64 v253, v42, v72, s[44:45]                 // 0000000048D8: D10000FD 00B2912A
	v_or_b32_dpp v128, v136, v128 row_shr:8 row_mask:0xf bank_mask:0xf bound_ctrl:1// 0000000048E0: 290100FA FF091888
	v_or_b32_dpp v129, v137, v129 row_shr:8 row_mask:0xf bank_mask:0xf bound_ctrl:1// 0000000048E8: 290302FA FF091889
	v_or_b32_dpp v130, v138, v130 row_shr:8 row_mask:0xf bank_mask:0xf bound_ctrl:1// 0000000048F0: 290504FA FF09188A
	v_or_b32_dpp v131, v139, v131 row_shr:8 row_mask:0xf bank_mask:0xf bound_ctrl:1// 0000000048F8: 290706FA FF09188B
	v_or_b32_dpp v132, v140, v132 row_shr:8 row_mask:0xf bank_mask:0xf bound_ctrl:1// 000000004900: 290908FA FF09188C
	v_or_b32_dpp v133, v141, v133 row_shr:8 row_mask:0xf bank_mask:0xf bound_ctrl:1// 000000004908: 290B0AFA FF09188D
	v_or_b32_dpp v134, v142, v134 row_shr:8 row_mask:0xf bank_mask:0xf bound_ctrl:1// 000000004910: 290D0CFA FF09188E
	v_or_b32_dpp v135, v143, v135 row_shr:8 row_mask:0xf bank_mask:0xf bound_ctrl:1// 000000004918: 290F0EFA FF09188F
	v_mul_f32_e32 v128, v54, v128                              // 000000004920: 0B010136
	v_mul_f32_e32 v129, v54, v129                              // 000000004924: 0B030336
	v_mul_f32_e32 v130, v54, v130                              // 000000004928: 0B050536
	v_mul_f32_e32 v131, v54, v131                              // 00000000492C: 0B070736
	v_mul_f32_e32 v132, v54, v132                              // 000000004930: 0B090936
	v_mul_f32_e32 v133, v54, v133                              // 000000004934: 0B0B0B36
	v_mul_f32_e32 v134, v54, v134                              // 000000004938: 0B0D0D36
	v_mul_f32_e32 v135, v54, v135                              // 00000000493C: 0B0F0F36
	v_mul_f32_dpp v128, v248, v128 quad_perm:[0,0,0,0] row_mask:0xf bank_mask:0xf// 000000004940: 0B0100FA FF0000F8
	v_mul_f32_dpp v129, v248, v129 quad_perm:[1,1,1,1] row_mask:0xf bank_mask:0xf// 000000004948: 0B0302FA FF0055F8
	v_mul_f32_dpp v130, v248, v130 quad_perm:[2,2,2,2] row_mask:0xf bank_mask:0xf// 000000004950: 0B0504FA FF00AAF8
	v_mul_f32_dpp v131, v248, v131 quad_perm:[3,3,3,3] row_mask:0xf bank_mask:0xf// 000000004958: 0B0706FA FF00FFF8
	v_mul_f32_dpp v132, v249, v132 quad_perm:[0,0,0,0] row_mask:0xf bank_mask:0xf// 000000004960: 0B0908FA FF0000F9
	v_mul_f32_dpp v133, v249, v133 quad_perm:[1,1,1,1] row_mask:0xf bank_mask:0xf// 000000004968: 0B0B0AFA FF0055F9
	v_mul_f32_dpp v134, v249, v134 quad_perm:[2,2,2,2] row_mask:0xf bank_mask:0xf// 000000004970: 0B0D0CFA FF00AAF9
	v_mul_f32_dpp v135, v249, v135 quad_perm:[3,3,3,3] row_mask:0xf bank_mask:0xf// 000000004978: 0B0F0EFA FF00FFF9
	s_and_b32 s60, s72, 0xff                                   // 000000004980: 863CFF48 000000FF
	v_mov_b32_e32 v79, s60                                     // 000000004988: 7E9E023C
	v_lshrrev_b32_e32 v240, 4, v0                              // 00000000498C: 21E00084
	v_mul_i32_i24_e32 v240, 4, v240                            // 000000004990: 0DE1E084
	v_and_b32_e32 v41, 15, v0                                  // 000000004994: 2652008F
	v_lshrrev_b32_e32 v41, 3, v41                              // 000000004998: 20525283
	v_mul_i32_i24_e32 v41, 0x80, v41                           // 00000000499C: 0C5252FF 00000080
	v_add_u32_e32 v240, v41, v240                              // 0000000049A4: 69E1E129
	s_mul_i32 s60, s7, 16                                      // 0000000049A8: 923C9007
	v_add_u32_e32 v240, s60, v240                              // 0000000049AC: 69E1E03C
	v_add_u32_e32 v241, 1, v240                                // 0000000049B0: 69E3E081
	v_add_u32_e32 v242, 2, v240                                // 0000000049B4: 69E5E082
	v_add_u32_e32 v243, 3, v240                                // 0000000049B8: 69E7E083
	v_cmp_lt_u32_e64 s[40:41], v240, v79                       // 0000000049BC: D0C90028 00029FF0
	v_add_u32_e32 v240, 64, v240                               // 0000000049C4: 69E1E0C0
	s_nop 0                                                    // 0000000049C8: BF800000
	v_cndmask_b32_e64 v128, v69, v128, s[40:41]                // 0000000049CC: D1000080 00A30145
	v_cmp_lt_u32_e64 s[40:41], v241, v79                       // 0000000049D4: D0C90028 00029FF1
	v_add_u32_e32 v241, 64, v241                               // 0000000049DC: 69E3E2C0
	s_nop 0                                                    // 0000000049E0: BF800000
	v_cndmask_b32_e64 v129, v69, v129, s[40:41]                // 0000000049E4: D1000081 00A30345
	v_cmp_lt_u32_e64 s[40:41], v242, v79                       // 0000000049EC: D0C90028 00029FF2
	v_add_u32_e32 v242, 64, v242                               // 0000000049F4: 69E5E4C0
	s_nop 0                                                    // 0000000049F8: BF800000
	v_cndmask_b32_e64 v130, v69, v130, s[40:41]                // 0000000049FC: D1000082 00A30545
	v_cmp_lt_u32_e64 s[40:41], v243, v79                       // 000000004A04: D0C90028 00029FF3
	v_add_u32_e32 v243, 64, v243                               // 000000004A0C: 69E7E6C0
	s_nop 0                                                    // 000000004A10: BF800000
	v_cndmask_b32_e64 v131, v69, v131, s[40:41]                // 000000004A14: D1000083 00A30745
	v_cmp_lt_u32_e64 s[40:41], v240, v79                       // 000000004A1C: D0C90028 00029FF0
	v_add_u32_e32 v240, 64, v240                               // 000000004A24: 69E1E0C0
	s_nop 0                                                    // 000000004A28: BF800000
	v_cndmask_b32_e64 v132, v69, v132, s[40:41]                // 000000004A2C: D1000084 00A30945
	v_cmp_lt_u32_e64 s[40:41], v241, v79                       // 000000004A34: D0C90028 00029FF1
	v_add_u32_e32 v241, 64, v241                               // 000000004A3C: 69E3E2C0
	s_nop 0                                                    // 000000004A40: BF800000
	v_cndmask_b32_e64 v133, v69, v133, s[40:41]                // 000000004A44: D1000085 00A30B45
	v_cmp_lt_u32_e64 s[40:41], v242, v79                       // 000000004A4C: D0C90028 00029FF2
	v_add_u32_e32 v242, 64, v242                               // 000000004A54: 69E5E4C0
	s_nop 0                                                    // 000000004A58: BF800000
	v_cndmask_b32_e64 v134, v69, v134, s[40:41]                // 000000004A5C: D1000086 00A30D45
	v_cmp_lt_u32_e64 s[40:41], v243, v79                       // 000000004A64: D0C90028 00029FF3
	v_add_u32_e32 v243, 64, v243                               // 000000004A6C: 69E7E6C0
	s_nop 0                                                    // 000000004A70: BF800000
	v_cndmask_b32_e64 v135, v69, v135, s[40:41]                // 000000004A74: D1000087 00A30F45
	v_mov_b32_e32 v62, v128                                    // 000000004A7C: 7E7C0380
	v_max3_f32 v62, v128, v129, v62                            // 000000004A80: D1D3003E 04FB0380
	v_max3_f32 v62, v130, v131, v62                            // 000000004A88: D1D3003E 04FB0782
	v_max3_f32 v62, v132, v133, v62                            // 000000004A90: D1D3003E 04FB0B84
	v_max3_f32 v62, v134, v135, v62                            // 000000004A98: D1D3003E 04FB0F86
	ds_write_b32 v11, v62 offset:16896                         // 000000004AA0: D81A4200 00003E0B
	v_mul_u32_u24_dpp v41, v20, v68 row_newbcast:1 row_mask:0xf bank_mask:0xf// 000000004AA8: 105288FA FF015114
	v_mul_u32_u24_dpp v42, v20, v68 row_newbcast:5 row_mask:0xf bank_mask:0xf// 000000004AB0: 105488FA FF015514
	v_mul_u32_u24_dpp v43, v20, v68 row_newbcast:9 row_mask:0xf bank_mask:0xf// 000000004AB8: 105688FA FF015914
	v_mul_u32_u24_dpp v44, v20, v68 row_newbcast:13 row_mask:0xf bank_mask:0xf// 000000004AC0: 105888FA FF015D14
	v_add_u32_e32 v37, v41, v7                                 // 000000004AC8: 684A0F29
	v_add_u32_e32 v38, v42, v7                                 // 000000004ACC: 684C0F2A
	v_add_u32_e32 v39, v43, v7                                 // 000000004AD0: 684E0F2B
	v_add_u32_e32 v40, v44, v7                                 // 000000004AD4: 68500F2C
	s_waitcnt lgkmcnt(0)                                       // 000000004AD8: BF8CC07F
	s_barrier                                                  // 000000004ADC: BF8A0000
	ds_read_b32 v80, v10 offset:16896                          // 000000004AE0: D86C4200 5000000A
	ds_read_b32 v81, v10 offset:16960                          // 000000004AE8: D86C4240 5100000A
	ds_read_b32 v82, v10 offset:17024                          // 000000004AF0: D86C4280 5200000A
	ds_read_b32 v83, v10 offset:17088                          // 000000004AF8: D86C42C0 5300000A
	ds_read_b32 v84, v10 offset:17152                          // 000000004B00: D86C4300 5400000A
	ds_read_b32 v85, v10 offset:17216                          // 000000004B08: D86C4340 5500000A
	ds_read_b32 v86, v10 offset:17280                          // 000000004B10: D86C4380 5600000A
	ds_read_b32 v87, v10 offset:17344                          // 000000004B18: D86C43C0 5700000A
	ds_read_b32 v88, v10 offset:17408                          // 000000004B20: D86C4400 5800000A
	ds_read_b32 v89, v10 offset:17472                          // 000000004B28: D86C4440 5900000A
	ds_read_b32 v90, v10 offset:17536                          // 000000004B30: D86C4480 5A00000A
	ds_read_b32 v91, v10 offset:17600                          // 000000004B38: D86C44C0 5B00000A
	ds_read_b32 v92, v10 offset:17664                          // 000000004B40: D86C4500 5C00000A
	ds_read_b32 v93, v10 offset:17728                          // 000000004B48: D86C4540 5D00000A
	ds_read_b32 v94, v10 offset:17792                          // 000000004B50: D86C4580 5E00000A
	ds_read_b32 v95, v10 offset:17856                          // 000000004B58: D86C45C0 5F00000A
	v_mul_f32_e32 v224, v63, v224                              // 000000004B60: 0BC1C13F
	v_mul_f32_e32 v225, v63, v225                              // 000000004B64: 0BC3C33F
	v_mul_f32_e32 v226, v63, v226                              // 000000004B68: 0BC5C53F
	v_mul_f32_e32 v227, v63, v227                              // 000000004B6C: 0BC7C73F
	v_or_b32_dpp v192, v196, v192 row_shr:8 row_mask:0xf bank_mask:0xf bound_ctrl:1// 000000004B70: 298180FA FF0918C4
	v_or_b32_dpp v193, v197, v193 row_shr:8 row_mask:0xf bank_mask:0xf bound_ctrl:1// 000000004B78: 298382FA FF0918C5
	v_or_b32_dpp v194, v198, v194 row_shr:8 row_mask:0xf bank_mask:0xf bound_ctrl:1// 000000004B80: 298584FA FF0918C6
	v_or_b32_dpp v195, v199, v195 row_shr:8 row_mask:0xf bank_mask:0xf bound_ctrl:1// 000000004B88: 298786FA FF0918C7
	s_waitcnt lgkmcnt(0)                                       // 000000004B90: BF8CC07F
	v_max3_f32 v62, v80, v81, v62                              // 000000004B94: D1D3003E 04FAA350
	v_max3_f32 v62, v82, v83, v62                              // 000000004B9C: D1D3003E 04FAA752
	v_max3_f32 v62, v84, v85, v62                              // 000000004BA4: D1D3003E 04FAAB54
	v_max3_f32 v62, v86, v87, v62                              // 000000004BAC: D1D3003E 04FAAF56
	v_max3_f32 v62, v88, v89, v62                              // 000000004BB4: D1D3003E 04FAB358
	v_max3_f32 v62, v90, v91, v62                              // 000000004BBC: D1D3003E 04FAB75A
	v_max3_f32 v62, v92, v93, v62                              // 000000004BC4: D1D3003E 04FABB5C
	v_max3_f32 v62, v94, v95, v62                              // 000000004BCC: D1D3003E 04FABF5E
	v_cmp_eq_u32_e64 s[40:41], v69, v14                        // 000000004BD4: D0CA0028 00021D45
	s_nop 1                                                    // 000000004BDC: BF800001
	v_mov_b32_dpp v41, v62 row_ror:8 row_mask:0xf bank_mask:0xf// 000000004BE0: 7E5202FA FF01283E
	v_max_f32_e32 v62, v62, v41                                // 000000004BE8: 167C533E
	v_max_f32_e32 v18, v62, v14                                // 000000004BEC: 16241D3E
	v_mul_f32_e32 v67, s64, v18                                // 000000004BF0: 0A862440
	v_fma_f32 v128, v128, s64, -v67                            // 000000004BF4: D1CB0080 850C8180
	v_fma_f32 v129, v129, s64, -v67                            // 000000004BFC: D1CB0081 850C8181
	v_fma_f32 v130, v130, s64, -v67                            // 000000004C04: D1CB0082 850C8182
	v_fma_f32 v131, v131, s64, -v67                            // 000000004C0C: D1CB0083 850C8183
	v_fma_f32 v132, v132, s64, -v67                            // 000000004C14: D1CB0084 850C8184
	v_fma_f32 v133, v133, s64, -v67                            // 000000004C1C: D1CB0085 850C8185
	v_fma_f32 v134, v134, s64, -v67                            // 000000004C24: D1CB0086 850C8186
	v_fma_f32 v135, v135, s64, -v67                            // 000000004C2C: D1CB0087 850C8187
	v_exp_f32_e32 v128, v128                                   // 000000004C34: 7F004180
	v_exp_f32_e32 v129, v129                                   // 000000004C38: 7F024181
	v_exp_f32_e32 v130, v130                                   // 000000004C3C: 7F044182
	v_exp_f32_e32 v131, v131                                   // 000000004C40: 7F064183
	v_exp_f32_e32 v132, v132                                   // 000000004C44: 7F084184
	v_exp_f32_e32 v133, v133                                   // 000000004C48: 7F0A4185
	v_exp_f32_e32 v134, v134                                   // 000000004C4C: 7F0C4186
	v_exp_f32_e32 v135, v135                                   // 000000004C50: 7F0E4187
	v_mul_f32_dpp v240, v252, v128 quad_perm:[0,0,0,0] row_mask:0xf bank_mask:0xf// 000000004C54: 0BE100FA FF0000FC
	v_mul_f32_dpp v241, v252, v129 quad_perm:[1,1,1,1] row_mask:0xf bank_mask:0xf// 000000004C5C: 0BE302FA FF0055FC
	v_mul_f32_dpp v242, v252, v130 quad_perm:[2,2,2,2] row_mask:0xf bank_mask:0xf// 000000004C64: 0BE504FA FF00AAFC
	v_mul_f32_dpp v243, v252, v131 quad_perm:[3,3,3,3] row_mask:0xf bank_mask:0xf// 000000004C6C: 0BE706FA FF00FFFC
	v_mul_f32_dpp v244, v253, v132 quad_perm:[0,0,0,0] row_mask:0xf bank_mask:0xf// 000000004C74: 0BE908FA FF0000FD
	v_mul_f32_dpp v245, v253, v133 quad_perm:[1,1,1,1] row_mask:0xf bank_mask:0xf// 000000004C7C: 0BEB0AFA FF0055FD
	v_mul_f32_dpp v246, v253, v134 quad_perm:[2,2,2,2] row_mask:0xf bank_mask:0xf// 000000004C84: 0BED0CFA FF00AAFD
	v_mul_f32_dpp v247, v253, v135 quad_perm:[3,3,3,3] row_mask:0xf bank_mask:0xf// 000000004C8C: 0BEF0EFA FF00FFFD
	v_mov_b32_e32 v62, 0x358637bd                              // 000000004C94: 7E7C02FF 358637BD
	v_max3_f32 v62, |v240|, |v241|, v62                        // 000000004C9C: D1D3033E 04FBE3F0
	v_max3_f32 v62, |v242|, |v243|, v62                        // 000000004CA4: D1D3033E 04FBE7F2
	v_max3_f32 v62, |v244|, |v245|, v62                        // 000000004CAC: D1D3033E 04FBEBF4
	v_max3_f32 v62, |v246|, |v247|, v62                        // 000000004CB4: D1D3033E 04FBEFF6
	ds_write_b32 v11, v62 offset:20992                         // 000000004CBC: D81A5200 00003E0B
	v_sub_f32_e32 v63, v14, v18                                // 000000004CC4: 047E250E
	v_cndmask_b32_e64 v63, v63, 0, s[40:41]                    // 000000004CC8: D100003F 00A1013F
	v_mov_b32_e32 v14, v18                                     // 000000004CD0: 7E1C0312
	v_mul_f32_e32 v63, s64, v63                                // 000000004CD4: 0A7E7E40
	v_exp_f32_e32 v63, v63                                     // 000000004CD8: 7E7E413F
	s_waitcnt lgkmcnt(0)                                       // 000000004CDC: BF8CC07F
	s_barrier                                                  // 000000004CE0: BF8A0000
	ds_read_b32 v80, v10 offset:20992                          // 000000004CE4: D86C5200 5000000A
	ds_read_b32 v81, v10 offset:21056                          // 000000004CEC: D86C5240 5100000A
	ds_read_b32 v82, v10 offset:21120                          // 000000004CF4: D86C5280 5200000A
	ds_read_b32 v83, v10 offset:21184                          // 000000004CFC: D86C52C0 5300000A
	ds_read_b32 v84, v10 offset:21248                          // 000000004D04: D86C5300 5400000A
	ds_read_b32 v85, v10 offset:21312                          // 000000004D0C: D86C5340 5500000A
	ds_read_b32 v86, v10 offset:21376                          // 000000004D14: D86C5380 5600000A
	ds_read_b32 v87, v10 offset:21440                          // 000000004D1C: D86C53C0 5700000A
	ds_read_b32 v88, v10 offset:21504                          // 000000004D24: D86C5400 5800000A
	ds_read_b32 v89, v10 offset:21568                          // 000000004D2C: D86C5440 5900000A
	ds_read_b32 v90, v10 offset:21632                          // 000000004D34: D86C5480 5A00000A
	ds_read_b32 v91, v10 offset:21696                          // 000000004D3C: D86C54C0 5B00000A
	ds_read_b32 v92, v10 offset:21760                          // 000000004D44: D86C5500 5C00000A
	ds_read_b32 v93, v10 offset:21824                          // 000000004D4C: D86C5540 5D00000A
	ds_read_b32 v94, v10 offset:21888                          // 000000004D54: D86C5580 5E00000A
	ds_read_b32 v95, v10 offset:21952                          // 000000004D5C: D86C55C0 5F00000A
	v_mul_f32_e32 v47, v63, v47                                // 000000004D64: 0A5E5F3F
	v_mov_b32_e32 v51, v128                                    // 000000004D68: 7E660380
	v_add_f32_e32 v51, v129, v51                               // 000000004D6C: 02666781
	v_add_f32_e32 v51, v130, v51                               // 000000004D70: 02666782
	v_add_f32_e32 v51, v131, v51                               // 000000004D74: 02666783
	v_add_f32_e32 v51, v132, v51                               // 000000004D78: 02666784
	v_add_f32_e32 v51, v133, v51                               // 000000004D7C: 02666785
	v_add_f32_e32 v51, v134, v51                               // 000000004D80: 02666786
	v_add_f32_e32 v51, v135, v51                               // 000000004D84: 02666787
	v_add_f32_e32 v47, v51, v47                                // 000000004D88: 025E5F33
	s_waitcnt lgkmcnt(0)                                       // 000000004D8C: BF8CC07F
	v_max3_f32 v62, |v80|, |v81|, v62                          // 000000004D90: D1D3033E 04FAA350
	v_max3_f32 v62, |v82|, |v83|, v62                          // 000000004D98: D1D3033E 04FAA752
	v_max3_f32 v62, |v84|, |v85|, v62                          // 000000004DA0: D1D3033E 04FAAB54
	v_max3_f32 v62, |v86|, |v87|, v62                          // 000000004DA8: D1D3033E 04FAAF56
	v_max3_f32 v62, |v88|, |v89|, v62                          // 000000004DB0: D1D3033E 04FAB358
	v_max3_f32 v62, |v90|, |v91|, v62                          // 000000004DB8: D1D3033E 04FAB75A
	v_max3_f32 v62, |v92|, |v93|, v62                          // 000000004DC0: D1D3033E 04FABB5C
	v_max3_f32 v62, |v94|, |v95|, v62                          // 000000004DC8: D1D3033E 04FABF5E
	s_nop 2                                                    // 000000004DD0: BF800002
	v_mov_b32_dpp v41, v62 row_ror:8 row_mask:0xf bank_mask:0xf// 000000004DD4: 7E5202FA FF01283E
	v_max_f32_e32 v62, v62, v41                                // 000000004DDC: 167C533E
	v_rcp_f32_e32 v62, v62                                     // 000000004DE0: 7E7C453E
	s_nop 1                                                    // 000000004DE4: BF800001
	v_mul_f32_e32 v62, 0x43e00000, v62                         // 000000004DE8: 0A7C7CFF 43E00000
	v_mul_f32_e32 v128, v62, v240                              // 000000004DF0: 0B01E13E
	v_mul_f32_e32 v129, v62, v241                              // 000000004DF4: 0B03E33E
	v_mul_f32_e32 v130, v62, v242                              // 000000004DF8: 0B05E53E
	v_mul_f32_e32 v131, v62, v243                              // 000000004DFC: 0B07E73E
	v_mul_f32_e32 v132, v62, v244                              // 000000004E00: 0B09E93E
	v_mul_f32_e32 v133, v62, v245                              // 000000004E04: 0B0BEB3E
	v_mul_f32_e32 v134, v62, v246                              // 000000004E08: 0B0DED3E
	v_mul_f32_e32 v135, v62, v247                              // 000000004E0C: 0B0FEF3E
	v_cvt_pk_fp8_f32 v128, v128, v129                          // 000000004E10: D2A20080 00030380
	v_cvt_pk_fp8_f32 v128, v130, v131 op_sel:[0,0,1]           // 000000004E18: D2A24080 00030782
	v_cvt_pk_fp8_f32 v129, v132, v133                          // 000000004E20: D2A20081 00030B84
	v_cvt_pk_fp8_f32 v129, v134, v135 op_sel:[0,0,1]           // 000000004E28: D2A24081 00030F86
	ds_write_b32 v13, v128 offset:25088                        // 000000004E30: D81A6200 0000800D
	ds_write_b32 v13, v129 offset:26112                        // 000000004E38: D81A6600 0000810D
	v_mul_f32_e32 v192, v58, v192                              // 000000004E40: 0B81813A
	v_mul_f32_e32 v193, v58, v193                              // 000000004E44: 0B83833A
	v_mul_f32_e32 v194, v58, v194                              // 000000004E48: 0B85853A
	v_mul_f32_e32 v195, v58, v195                              // 000000004E4C: 0B87873A
	v_rcp_f32_e32 v58, v62                                     // 000000004E50: 7E74453E
	s_waitcnt lgkmcnt(0)                                       // 000000004E54: BF8CC07F
	s_barrier                                                  // 000000004E58: BF8A0000
	ds_read_b64 v[128:129], v12 offset:25088                   // 000000004E5C: D8EC6200 8000000C
	ds_read_b64 v[130:131], v12 offset:25216                   // 000000004E64: D8EC6280 8200000C
	ds_read_b64 v[132:133], v12 offset:26112                   // 000000004E6C: D8EC6600 8400000C
	ds_read_b64 v[134:135], v12 offset:26240                   // 000000004E74: D8EC6680 8600000C
	v_add_f32_e32 v224, v224, v192                             // 000000004E7C: 03C181E0
	v_add_f32_e32 v225, v225, v193                             // 000000004E80: 03C383E1
	v_add_f32_e32 v226, v226, v194                             // 000000004E84: 03C585E2
	v_add_f32_e32 v227, v227, v195                             // 000000004E88: 03C787E3
	s_waitcnt lgkmcnt(3)                                       // 000000004E8C: BF8CC37F
	v_mov_b32_dpp v136, v128 row_shl:8 row_mask:0xf bank_mask:0xf bound_ctrl:1// 000000004E90: 7F1002FA FF090880
	v_and_b32_e32 v128, v128, v9                               // 000000004E98: 27001380
	v_mov_b32_dpp v137, v129 row_shl:8 row_mask:0xf bank_mask:0xf bound_ctrl:1// 000000004E9C: 7F1202FA FF090881
	v_and_b32_e32 v129, v129, v9                               // 000000004EA4: 27021381
	s_waitcnt lgkmcnt(2)                                       // 000000004EA8: BF8CC27F
	v_mov_b32_dpp v138, v130 row_shl:8 row_mask:0xf bank_mask:0xf bound_ctrl:1// 000000004EAC: 7F1402FA FF090882
	v_and_b32_e32 v130, v130, v9                               // 000000004EB4: 27041382
	v_mov_b32_dpp v139, v131 row_shl:8 row_mask:0xf bank_mask:0xf bound_ctrl:1// 000000004EB8: 7F1602FA FF090883
	v_and_b32_e32 v131, v131, v9                               // 000000004EC0: 27061383
	s_waitcnt lgkmcnt(1)                                       // 000000004EC4: BF8CC17F
	v_mov_b32_dpp v140, v132 row_shl:8 row_mask:0xf bank_mask:0xf bound_ctrl:1// 000000004EC8: 7F1802FA FF090884
	v_and_b32_e32 v132, v132, v9                               // 000000004ED0: 27081384
	v_mov_b32_dpp v141, v133 row_shl:8 row_mask:0xf bank_mask:0xf bound_ctrl:1// 000000004ED4: 7F1A02FA FF090885
	v_and_b32_e32 v133, v133, v9                               // 000000004EDC: 270A1385
	s_waitcnt lgkmcnt(0)                                       // 000000004EE0: BF8CC07F
	v_mov_b32_dpp v142, v134 row_shl:8 row_mask:0xf bank_mask:0xf bound_ctrl:1// 000000004EE4: 7F1C02FA FF090886
	v_and_b32_e32 v134, v134, v9                               // 000000004EEC: 270C1386
	v_mov_b32_dpp v143, v135 row_shl:8 row_mask:0xf bank_mask:0xf bound_ctrl:1// 000000004EF0: 7F1E02FA FF090887
	v_and_b32_e32 v135, v135, v9                               // 000000004EF8: 270E1387
	s_waitcnt vmcnt(0)                                         // 000000004EFC: BF8C0F70
	s_barrier                                                  // 000000004F00: BF8A0000
	v_mfma_f32_16x16x32_fp8_fp8 v[192:195], a[64:65], v[128:129], 0// 000000004F04: D3F300C0 0A030140
	v_mfma_f32_16x16x32_fp8_fp8 v[192:195], a[66:67], v[130:131], v[192:195]// 000000004F0C: D3F300C0 0F030542
	v_mfma_f32_16x16x32_fp8_fp8 v[192:195], a[68:69], v[132:133], v[192:195]// 000000004F14: D3F300C0 0F030944
	v_mfma_f32_16x16x32_fp8_fp8 v[192:195], a[70:71], v[134:135], v[192:195]// 000000004F1C: D3F300C0 0F030D46
	v_mfma_f32_16x16x32_fp8_fp8 v[192:195], a[72:73], v[136:137], v[192:195]// 000000004F24: D3F300C0 0F031148
	v_mfma_f32_16x16x32_fp8_fp8 v[192:195], a[74:75], v[138:139], v[192:195]// 000000004F2C: D3F300C0 0F03154A
	v_mfma_f32_16x16x32_fp8_fp8 v[192:195], a[76:77], v[140:141], v[192:195]// 000000004F34: D3F300C0 0F03194C
	v_mfma_f32_16x16x32_fp8_fp8 v[192:195], a[78:79], v[142:143], v[192:195]// 000000004F3C: D3F300C0 0F031D4E
	v_mfma_f32_16x16x32_fp8_fp8 v[196:199], a[80:81], v[128:129], 0// 000000004F44: D3F300C4 0A030150
	v_mfma_f32_16x16x32_fp8_fp8 v[196:199], a[82:83], v[130:131], v[196:199]// 000000004F4C: D3F300C4 0F130552
	v_mfma_f32_16x16x32_fp8_fp8 v[196:199], a[84:85], v[132:133], v[196:199]// 000000004F54: D3F300C4 0F130954
	v_mfma_f32_16x16x32_fp8_fp8 v[196:199], a[86:87], v[134:135], v[196:199]// 000000004F5C: D3F300C4 0F130D56
	v_mfma_f32_16x16x32_fp8_fp8 v[196:199], a[88:89], v[136:137], v[196:199]// 000000004F64: D3F300C4 0F131158
	v_mfma_f32_16x16x32_fp8_fp8 v[196:199], a[90:91], v[138:139], v[196:199]// 000000004F6C: D3F300C4 0F13155A
	v_mfma_f32_16x16x32_fp8_fp8 v[196:199], a[92:93], v[140:141], v[196:199]// 000000004F74: D3F300C4 0F13195C
	v_mfma_f32_16x16x32_fp8_fp8 v[196:199], a[94:95], v[142:143], v[196:199]// 000000004F7C: D3F300C4 0F131D5E
	s_nop 4                                                    // 000000004F84: BF800004
	s_branch label_0D40                                        // 000000004F88: BF8201DD

0000000000004f8c <label_0B63>:
	s_waitcnt vmcnt(8) lgkmcnt(0)                              // 000000004F8C: BF8C0078
	s_barrier                                                  // 000000004F90: BF8A0000
	v_mfma_f32_16x16x32_fp8_fp8 v[128:131], a[32:33], v[96:97], 0// 000000004F94: D3F30080 0A02C120
	v_mfma_f32_16x16x32_fp8_fp8 v[128:131], a[34:35], v[98:99], v[128:131]// 000000004F9C: D3F30080 0E02C522
	v_mfma_f32_16x16x32_fp8_fp8 v[128:131], a[36:37], v[100:101], v[128:131]// 000000004FA4: D3F30080 0E02C924
	v_mfma_f32_16x16x32_fp8_fp8 v[128:131], a[38:39], v[102:103], v[128:131]// 000000004FAC: D3F30080 0E02CD26
	v_mfma_f32_16x16x32_fp8_fp8 v[132:135], a[40:41], v[96:97], 0// 000000004FB4: D3F30084 0A02C128
	v_mfma_f32_16x16x32_fp8_fp8 v[132:135], a[42:43], v[98:99], v[132:135]// 000000004FBC: D3F30084 0E12C52A
	v_mfma_f32_16x16x32_fp8_fp8 v[132:135], a[44:45], v[100:101], v[132:135]// 000000004FC4: D3F30084 0E12C92C
	v_mfma_f32_16x16x32_fp8_fp8 v[132:135], a[46:47], v[102:103], v[132:135]// 000000004FCC: D3F30084 0E12CD2E
	v_mfma_f32_16x16x32_fp8_fp8 v[136:139], a[48:49], v[96:97], 0// 000000004FD4: D3F30088 0A02C130
	v_mfma_f32_16x16x32_fp8_fp8 v[136:139], a[50:51], v[98:99], v[136:139]// 000000004FDC: D3F30088 0E22C532
	v_mfma_f32_16x16x32_fp8_fp8 v[136:139], a[52:53], v[100:101], v[136:139]// 000000004FE4: D3F30088 0E22C934
	v_mfma_f32_16x16x32_fp8_fp8 v[136:139], a[54:55], v[102:103], v[136:139]// 000000004FEC: D3F30088 0E22CD36
	v_mfma_f32_16x16x32_fp8_fp8 v[140:143], a[56:57], v[96:97], 0// 000000004FF4: D3F3008C 0A02C138
	v_mfma_f32_16x16x32_fp8_fp8 v[140:143], a[58:59], v[98:99], v[140:143]// 000000004FFC: D3F3008C 0E32C53A
	v_mfma_f32_16x16x32_fp8_fp8 v[140:143], a[60:61], v[100:101], v[140:143]// 000000005004: D3F3008C 0E32C93C
	v_mfma_f32_16x16x32_fp8_fp8 v[140:143], a[62:63], v[102:103], v[140:143]// 00000000500C: D3F3008C 0E32CD3E
	v_mov_b32_dpp v41, v53 row_shr:4 row_mask:0xf bank_mask:0xf// 000000005014: 7E5202FA FF011435
	v_mov_b32_dpp v42, v53 row_shl:4 row_mask:0xf bank_mask:0xf// 00000000501C: 7E5402FA FF010435
	v_cndmask_b32_e64 v248, v53, v41, s[44:45]                 // 000000005024: D10000F8 00B25335
	v_cndmask_b32_e64 v249, v42, v53, s[44:45]                 // 00000000502C: D10000F9 00B26B2A
	v_mov_b32_dpp v41, v73 row_shr:4 row_mask:0xf bank_mask:0xf// 000000005034: 7E5202FA FF011449
	v_mov_b32_dpp v42, v73 row_shl:4 row_mask:0xf bank_mask:0xf// 00000000503C: 7E5402FA FF010449
	v_cndmask_b32_e64 v252, v73, v41, s[44:45]                 // 000000005044: D10000FC 00B25349
	v_cndmask_b32_e64 v253, v42, v73, s[44:45]                 // 00000000504C: D10000FD 00B2932A
	v_or_b32_dpp v128, v136, v128 row_shr:8 row_mask:0xf bank_mask:0xf bound_ctrl:1// 000000005054: 290100FA FF091888
	v_or_b32_dpp v129, v137, v129 row_shr:8 row_mask:0xf bank_mask:0xf bound_ctrl:1// 00000000505C: 290302FA FF091889
	v_or_b32_dpp v130, v138, v130 row_shr:8 row_mask:0xf bank_mask:0xf bound_ctrl:1// 000000005064: 290504FA FF09188A
	v_or_b32_dpp v131, v139, v131 row_shr:8 row_mask:0xf bank_mask:0xf bound_ctrl:1// 00000000506C: 290706FA FF09188B
	v_or_b32_dpp v132, v140, v132 row_shr:8 row_mask:0xf bank_mask:0xf bound_ctrl:1// 000000005074: 290908FA FF09188C
	v_or_b32_dpp v133, v141, v133 row_shr:8 row_mask:0xf bank_mask:0xf bound_ctrl:1// 00000000507C: 290B0AFA FF09188D
	v_or_b32_dpp v134, v142, v134 row_shr:8 row_mask:0xf bank_mask:0xf bound_ctrl:1// 000000005084: 290D0CFA FF09188E
	v_or_b32_dpp v135, v143, v135 row_shr:8 row_mask:0xf bank_mask:0xf bound_ctrl:1// 00000000508C: 290F0EFA FF09188F
	v_mul_f32_e32 v128, v54, v128                              // 000000005094: 0B010136
	v_mul_f32_e32 v129, v54, v129                              // 000000005098: 0B030336
	v_mul_f32_e32 v130, v54, v130                              // 00000000509C: 0B050536
	v_mul_f32_e32 v131, v54, v131                              // 0000000050A0: 0B070736
	v_mul_f32_e32 v132, v54, v132                              // 0000000050A4: 0B090936
	v_mul_f32_e32 v133, v54, v133                              // 0000000050A8: 0B0B0B36
	v_mul_f32_e32 v134, v54, v134                              // 0000000050AC: 0B0D0D36
	v_mul_f32_e32 v135, v54, v135                              // 0000000050B0: 0B0F0F36
	v_mul_f32_dpp v128, v248, v128 quad_perm:[0,0,0,0] row_mask:0xf bank_mask:0xf// 0000000050B4: 0B0100FA FF0000F8
	v_mul_f32_dpp v129, v248, v129 quad_perm:[1,1,1,1] row_mask:0xf bank_mask:0xf// 0000000050BC: 0B0302FA FF0055F8
	v_mul_f32_dpp v130, v248, v130 quad_perm:[2,2,2,2] row_mask:0xf bank_mask:0xf// 0000000050C4: 0B0504FA FF00AAF8
	v_mul_f32_dpp v131, v248, v131 quad_perm:[3,3,3,3] row_mask:0xf bank_mask:0xf// 0000000050CC: 0B0706FA FF00FFF8
	v_mul_f32_dpp v132, v249, v132 quad_perm:[0,0,0,0] row_mask:0xf bank_mask:0xf// 0000000050D4: 0B0908FA FF0000F9
	v_mul_f32_dpp v133, v249, v133 quad_perm:[1,1,1,1] row_mask:0xf bank_mask:0xf// 0000000050DC: 0B0B0AFA FF0055F9
	v_mul_f32_dpp v134, v249, v134 quad_perm:[2,2,2,2] row_mask:0xf bank_mask:0xf// 0000000050E4: 0B0D0CFA FF00AAF9
	v_mul_f32_dpp v135, v249, v135 quad_perm:[3,3,3,3] row_mask:0xf bank_mask:0xf// 0000000050EC: 0B0F0EFA FF00FFF9
	s_and_b32 s60, s72, 0xff                                   // 0000000050F4: 863CFF48 000000FF
	v_mov_b32_e32 v79, s60                                     // 0000000050FC: 7E9E023C
	v_lshrrev_b32_e32 v240, 4, v0                              // 000000005100: 21E00084
	v_mul_i32_i24_e32 v240, 4, v240                            // 000000005104: 0DE1E084
	v_and_b32_e32 v41, 15, v0                                  // 000000005108: 2652008F
	v_lshrrev_b32_e32 v41, 3, v41                              // 00000000510C: 20525283
	v_mul_i32_i24_e32 v41, 0x80, v41                           // 000000005110: 0C5252FF 00000080
	v_add_u32_e32 v240, v41, v240                              // 000000005118: 69E1E129
	s_mul_i32 s60, s7, 16                                      // 00000000511C: 923C9007
	v_add_u32_e32 v240, s60, v240                              // 000000005120: 69E1E03C
	v_add_u32_e32 v241, 1, v240                                // 000000005124: 69E3E081
	v_add_u32_e32 v242, 2, v240                                // 000000005128: 69E5E082
	v_add_u32_e32 v243, 3, v240                                // 00000000512C: 69E7E083
	v_cmp_lt_u32_e64 s[40:41], v240, v79                       // 000000005130: D0C90028 00029FF0
	v_add_u32_e32 v240, 64, v240                               // 000000005138: 69E1E0C0
	s_nop 0                                                    // 00000000513C: BF800000
	v_cndmask_b32_e64 v128, v69, v128, s[40:41]                // 000000005140: D1000080 00A30145
	v_cmp_lt_u32_e64 s[40:41], v241, v79                       // 000000005148: D0C90028 00029FF1
	v_add_u32_e32 v241, 64, v241                               // 000000005150: 69E3E2C0
	s_nop 0                                                    // 000000005154: BF800000
	v_cndmask_b32_e64 v129, v69, v129, s[40:41]                // 000000005158: D1000081 00A30345
	v_cmp_lt_u32_e64 s[40:41], v242, v79                       // 000000005160: D0C90028 00029FF2
	v_add_u32_e32 v242, 64, v242                               // 000000005168: 69E5E4C0
	s_nop 0                                                    // 00000000516C: BF800000
	v_cndmask_b32_e64 v130, v69, v130, s[40:41]                // 000000005170: D1000082 00A30545
	v_cmp_lt_u32_e64 s[40:41], v243, v79                       // 000000005178: D0C90028 00029FF3
	v_add_u32_e32 v243, 64, v243                               // 000000005180: 69E7E6C0
	s_nop 0                                                    // 000000005184: BF800000
	v_cndmask_b32_e64 v131, v69, v131, s[40:41]                // 000000005188: D1000083 00A30745
	v_cmp_lt_u32_e64 s[40:41], v240, v79                       // 000000005190: D0C90028 00029FF0
	v_add_u32_e32 v240, 64, v240                               // 000000005198: 69E1E0C0
	s_nop 0                                                    // 00000000519C: BF800000
	v_cndmask_b32_e64 v132, v69, v132, s[40:41]                // 0000000051A0: D1000084 00A30945
	v_cmp_lt_u32_e64 s[40:41], v241, v79                       // 0000000051A8: D0C90028 00029FF1
	v_add_u32_e32 v241, 64, v241                               // 0000000051B0: 69E3E2C0
	s_nop 0                                                    // 0000000051B4: BF800000
	v_cndmask_b32_e64 v133, v69, v133, s[40:41]                // 0000000051B8: D1000085 00A30B45
	v_cmp_lt_u32_e64 s[40:41], v242, v79                       // 0000000051C0: D0C90028 00029FF2
	v_add_u32_e32 v242, 64, v242                               // 0000000051C8: 69E5E4C0
	s_nop 0                                                    // 0000000051CC: BF800000
	v_cndmask_b32_e64 v134, v69, v134, s[40:41]                // 0000000051D0: D1000086 00A30D45
	v_cmp_lt_u32_e64 s[40:41], v243, v79                       // 0000000051D8: D0C90028 00029FF3
	v_add_u32_e32 v243, 64, v243                               // 0000000051E0: 69E7E6C0
	s_nop 0                                                    // 0000000051E4: BF800000
	v_cndmask_b32_e64 v135, v69, v135, s[40:41]                // 0000000051E8: D1000087 00A30F45
	v_mov_b32_e32 v62, v128                                    // 0000000051F0: 7E7C0380
	v_max3_f32 v62, v128, v129, v62                            // 0000000051F4: D1D3003E 04FB0380
	v_max3_f32 v62, v130, v131, v62                            // 0000000051FC: D1D3003E 04FB0782
	v_max3_f32 v62, v132, v133, v62                            // 000000005204: D1D3003E 04FB0B84
	v_max3_f32 v62, v134, v135, v62                            // 00000000520C: D1D3003E 04FB0F86
	ds_write_b32 v11, v62 offset:16896                         // 000000005214: D81A4200 00003E0B
	v_mul_u32_u24_dpp v41, v19, v68 row_newbcast:1 row_mask:0xf bank_mask:0xf// 00000000521C: 105288FA FF015113
	v_mul_u32_u24_dpp v42, v19, v68 row_newbcast:5 row_mask:0xf bank_mask:0xf// 000000005224: 105488FA FF015513
	v_mul_u32_u24_dpp v43, v19, v68 row_newbcast:9 row_mask:0xf bank_mask:0xf// 00000000522C: 105688FA FF015913
	v_mul_u32_u24_dpp v44, v19, v68 row_newbcast:13 row_mask:0xf bank_mask:0xf// 000000005234: 105888FA FF015D13
	v_add_u32_e32 v33, v41, v7                                 // 00000000523C: 68420F29
	v_add_u32_e32 v34, v42, v7                                 // 000000005240: 68440F2A
	v_add_u32_e32 v35, v43, v7                                 // 000000005244: 68460F2B
	v_add_u32_e32 v36, v44, v7                                 // 000000005248: 68480F2C
	s_waitcnt lgkmcnt(0)                                       // 00000000524C: BF8CC07F
	s_barrier                                                  // 000000005250: BF8A0000
	ds_read_b32 v80, v10 offset:16896                          // 000000005254: D86C4200 5000000A
	ds_read_b32 v81, v10 offset:16960                          // 00000000525C: D86C4240 5100000A
	ds_read_b32 v82, v10 offset:17024                          // 000000005264: D86C4280 5200000A
	ds_read_b32 v83, v10 offset:17088                          // 00000000526C: D86C42C0 5300000A
	ds_read_b32 v84, v10 offset:17152                          // 000000005274: D86C4300 5400000A
	ds_read_b32 v85, v10 offset:17216                          // 00000000527C: D86C4340 5500000A
	ds_read_b32 v86, v10 offset:17280                          // 000000005284: D86C4380 5600000A
	ds_read_b32 v87, v10 offset:17344                          // 00000000528C: D86C43C0 5700000A
	ds_read_b32 v88, v10 offset:17408                          // 000000005294: D86C4400 5800000A
	ds_read_b32 v89, v10 offset:17472                          // 00000000529C: D86C4440 5900000A
	ds_read_b32 v90, v10 offset:17536                          // 0000000052A4: D86C4480 5A00000A
	ds_read_b32 v91, v10 offset:17600                          // 0000000052AC: D86C44C0 5B00000A
	ds_read_b32 v92, v10 offset:17664                          // 0000000052B4: D86C4500 5C00000A
	ds_read_b32 v93, v10 offset:17728                          // 0000000052BC: D86C4540 5D00000A
	ds_read_b32 v94, v10 offset:17792                          // 0000000052C4: D86C4580 5E00000A
	ds_read_b32 v95, v10 offset:17856                          // 0000000052CC: D86C45C0 5F00000A
	v_mul_f32_e32 v224, v63, v224                              // 0000000052D4: 0BC1C13F
	v_mul_f32_e32 v225, v63, v225                              // 0000000052D8: 0BC3C33F
	v_mul_f32_e32 v226, v63, v226                              // 0000000052DC: 0BC5C53F
	v_mul_f32_e32 v227, v63, v227                              // 0000000052E0: 0BC7C73F
	v_or_b32_dpp v192, v196, v192 row_shr:8 row_mask:0xf bank_mask:0xf bound_ctrl:1// 0000000052E4: 298180FA FF0918C4
	v_or_b32_dpp v193, v197, v193 row_shr:8 row_mask:0xf bank_mask:0xf bound_ctrl:1// 0000000052EC: 298382FA FF0918C5
	v_or_b32_dpp v194, v198, v194 row_shr:8 row_mask:0xf bank_mask:0xf bound_ctrl:1// 0000000052F4: 298584FA FF0918C6
	v_or_b32_dpp v195, v199, v195 row_shr:8 row_mask:0xf bank_mask:0xf bound_ctrl:1// 0000000052FC: 298786FA FF0918C7
	s_waitcnt lgkmcnt(0)                                       // 000000005304: BF8CC07F
	v_max3_f32 v62, v80, v81, v62                              // 000000005308: D1D3003E 04FAA350
	v_max3_f32 v62, v82, v83, v62                              // 000000005310: D1D3003E 04FAA752
	v_max3_f32 v62, v84, v85, v62                              // 000000005318: D1D3003E 04FAAB54
	v_max3_f32 v62, v86, v87, v62                              // 000000005320: D1D3003E 04FAAF56
	v_max3_f32 v62, v88, v89, v62                              // 000000005328: D1D3003E 04FAB358
	v_max3_f32 v62, v90, v91, v62                              // 000000005330: D1D3003E 04FAB75A
	v_max3_f32 v62, v92, v93, v62                              // 000000005338: D1D3003E 04FABB5C
	v_max3_f32 v62, v94, v95, v62                              // 000000005340: D1D3003E 04FABF5E
	v_cmp_eq_u32_e64 s[40:41], v69, v14                        // 000000005348: D0CA0028 00021D45
	s_nop 1                                                    // 000000005350: BF800001
	v_mov_b32_dpp v41, v62 row_ror:8 row_mask:0xf bank_mask:0xf// 000000005354: 7E5202FA FF01283E
	v_max_f32_e32 v62, v62, v41                                // 00000000535C: 167C533E
	v_max_f32_e32 v18, v62, v14                                // 000000005360: 16241D3E
	v_mul_f32_e32 v67, s64, v18                                // 000000005364: 0A862440
	v_fma_f32 v128, v128, s64, -v67                            // 000000005368: D1CB0080 850C8180
	v_fma_f32 v129, v129, s64, -v67                            // 000000005370: D1CB0081 850C8181
	v_fma_f32 v130, v130, s64, -v67                            // 000000005378: D1CB0082 850C8182
	v_fma_f32 v131, v131, s64, -v67                            // 000000005380: D1CB0083 850C8183
	v_fma_f32 v132, v132, s64, -v67                            // 000000005388: D1CB0084 850C8184
	v_fma_f32 v133, v133, s64, -v67                            // 000000005390: D1CB0085 850C8185
	v_fma_f32 v134, v134, s64, -v67                            // 000000005398: D1CB0086 850C8186
	v_fma_f32 v135, v135, s64, -v67                            // 0000000053A0: D1CB0087 850C8187
	v_exp_f32_e32 v128, v128                                   // 0000000053A8: 7F004180
	v_exp_f32_e32 v129, v129                                   // 0000000053AC: 7F024181
	v_exp_f32_e32 v130, v130                                   // 0000000053B0: 7F044182
	v_exp_f32_e32 v131, v131                                   // 0000000053B4: 7F064183
	v_exp_f32_e32 v132, v132                                   // 0000000053B8: 7F084184
	v_exp_f32_e32 v133, v133                                   // 0000000053BC: 7F0A4185
	v_exp_f32_e32 v134, v134                                   // 0000000053C0: 7F0C4186
	v_exp_f32_e32 v135, v135                                   // 0000000053C4: 7F0E4187
	v_mul_f32_dpp v240, v252, v128 quad_perm:[0,0,0,0] row_mask:0xf bank_mask:0xf// 0000000053C8: 0BE100FA FF0000FC
	v_mul_f32_dpp v241, v252, v129 quad_perm:[1,1,1,1] row_mask:0xf bank_mask:0xf// 0000000053D0: 0BE302FA FF0055FC
	v_mul_f32_dpp v242, v252, v130 quad_perm:[2,2,2,2] row_mask:0xf bank_mask:0xf// 0000000053D8: 0BE504FA FF00AAFC
	v_mul_f32_dpp v243, v252, v131 quad_perm:[3,3,3,3] row_mask:0xf bank_mask:0xf// 0000000053E0: 0BE706FA FF00FFFC
	v_mul_f32_dpp v244, v253, v132 quad_perm:[0,0,0,0] row_mask:0xf bank_mask:0xf// 0000000053E8: 0BE908FA FF0000FD
	v_mul_f32_dpp v245, v253, v133 quad_perm:[1,1,1,1] row_mask:0xf bank_mask:0xf// 0000000053F0: 0BEB0AFA FF0055FD
	v_mul_f32_dpp v246, v253, v134 quad_perm:[2,2,2,2] row_mask:0xf bank_mask:0xf// 0000000053F8: 0BED0CFA FF00AAFD
	v_mul_f32_dpp v247, v253, v135 quad_perm:[3,3,3,3] row_mask:0xf bank_mask:0xf// 000000005400: 0BEF0EFA FF00FFFD
	v_mov_b32_e32 v62, 0x358637bd                              // 000000005408: 7E7C02FF 358637BD
	v_max3_f32 v62, |v240|, |v241|, v62                        // 000000005410: D1D3033E 04FBE3F0
	v_max3_f32 v62, |v242|, |v243|, v62                        // 000000005418: D1D3033E 04FBE7F2
	v_max3_f32 v62, |v244|, |v245|, v62                        // 000000005420: D1D3033E 04FBEBF4
	v_max3_f32 v62, |v246|, |v247|, v62                        // 000000005428: D1D3033E 04FBEFF6
	ds_write_b32 v11, v62 offset:20992                         // 000000005430: D81A5200 00003E0B
	v_sub_f32_e32 v63, v14, v18                                // 000000005438: 047E250E
	v_cndmask_b32_e64 v63, v63, 0, s[40:41]                    // 00000000543C: D100003F 00A1013F
	v_mov_b32_e32 v14, v18                                     // 000000005444: 7E1C0312
	v_mul_f32_e32 v63, s64, v63                                // 000000005448: 0A7E7E40
	v_exp_f32_e32 v63, v63                                     // 00000000544C: 7E7E413F
	s_waitcnt lgkmcnt(0)                                       // 000000005450: BF8CC07F
	s_barrier                                                  // 000000005454: BF8A0000
	ds_read_b32 v80, v10 offset:20992                          // 000000005458: D86C5200 5000000A
	ds_read_b32 v81, v10 offset:21056                          // 000000005460: D86C5240 5100000A
	ds_read_b32 v82, v10 offset:21120                          // 000000005468: D86C5280 5200000A
	ds_read_b32 v83, v10 offset:21184                          // 000000005470: D86C52C0 5300000A
	ds_read_b32 v84, v10 offset:21248                          // 000000005478: D86C5300 5400000A
	ds_read_b32 v85, v10 offset:21312                          // 000000005480: D86C5340 5500000A
	ds_read_b32 v86, v10 offset:21376                          // 000000005488: D86C5380 5600000A
	ds_read_b32 v87, v10 offset:21440                          // 000000005490: D86C53C0 5700000A
	ds_read_b32 v88, v10 offset:21504                          // 000000005498: D86C5400 5800000A
	ds_read_b32 v89, v10 offset:21568                          // 0000000054A0: D86C5440 5900000A
	ds_read_b32 v90, v10 offset:21632                          // 0000000054A8: D86C5480 5A00000A
	ds_read_b32 v91, v10 offset:21696                          // 0000000054B0: D86C54C0 5B00000A
	ds_read_b32 v92, v10 offset:21760                          // 0000000054B8: D86C5500 5C00000A
	ds_read_b32 v93, v10 offset:21824                          // 0000000054C0: D86C5540 5D00000A
	ds_read_b32 v94, v10 offset:21888                          // 0000000054C8: D86C5580 5E00000A
	ds_read_b32 v95, v10 offset:21952                          // 0000000054D0: D86C55C0 5F00000A
	v_mul_f32_e32 v47, v63, v47                                // 0000000054D8: 0A5E5F3F
	v_mov_b32_e32 v51, v128                                    // 0000000054DC: 7E660380
	v_add_f32_e32 v51, v129, v51                               // 0000000054E0: 02666781
	v_add_f32_e32 v51, v130, v51                               // 0000000054E4: 02666782
	v_add_f32_e32 v51, v131, v51                               // 0000000054E8: 02666783
	v_add_f32_e32 v51, v132, v51                               // 0000000054EC: 02666784
	v_add_f32_e32 v51, v133, v51                               // 0000000054F0: 02666785
	v_add_f32_e32 v51, v134, v51                               // 0000000054F4: 02666786
	v_add_f32_e32 v51, v135, v51                               // 0000000054F8: 02666787
	v_add_f32_e32 v47, v51, v47                                // 0000000054FC: 025E5F33
	s_waitcnt lgkmcnt(0)                                       // 000000005500: BF8CC07F
	v_max3_f32 v62, |v80|, |v81|, v62                          // 000000005504: D1D3033E 04FAA350
	v_max3_f32 v62, |v82|, |v83|, v62                          // 00000000550C: D1D3033E 04FAA752
	v_max3_f32 v62, |v84|, |v85|, v62                          // 000000005514: D1D3033E 04FAAB54
	v_max3_f32 v62, |v86|, |v87|, v62                          // 00000000551C: D1D3033E 04FAAF56
	v_max3_f32 v62, |v88|, |v89|, v62                          // 000000005524: D1D3033E 04FAB358
	v_max3_f32 v62, |v90|, |v91|, v62                          // 00000000552C: D1D3033E 04FAB75A
	v_max3_f32 v62, |v92|, |v93|, v62                          // 000000005534: D1D3033E 04FABB5C
	v_max3_f32 v62, |v94|, |v95|, v62                          // 00000000553C: D1D3033E 04FABF5E
	s_nop 2                                                    // 000000005544: BF800002
	v_mov_b32_dpp v41, v62 row_ror:8 row_mask:0xf bank_mask:0xf// 000000005548: 7E5202FA FF01283E
	v_max_f32_e32 v62, v62, v41                                // 000000005550: 167C533E
	v_rcp_f32_e32 v62, v62                                     // 000000005554: 7E7C453E
	s_nop 1                                                    // 000000005558: BF800001
	v_mul_f32_e32 v62, 0x43e00000, v62                         // 00000000555C: 0A7C7CFF 43E00000
	v_mul_f32_e32 v128, v62, v240                              // 000000005564: 0B01E13E
	v_mul_f32_e32 v129, v62, v241                              // 000000005568: 0B03E33E
	v_mul_f32_e32 v130, v62, v242                              // 00000000556C: 0B05E53E
	v_mul_f32_e32 v131, v62, v243                              // 000000005570: 0B07E73E
	v_mul_f32_e32 v132, v62, v244                              // 000000005574: 0B09E93E
	v_mul_f32_e32 v133, v62, v245                              // 000000005578: 0B0BEB3E
	v_mul_f32_e32 v134, v62, v246                              // 00000000557C: 0B0DED3E
	v_mul_f32_e32 v135, v62, v247                              // 000000005580: 0B0FEF3E
	v_cvt_pk_fp8_f32 v128, v128, v129                          // 000000005584: D2A20080 00030380
	v_cvt_pk_fp8_f32 v128, v130, v131 op_sel:[0,0,1]           // 00000000558C: D2A24080 00030782
	v_cvt_pk_fp8_f32 v129, v132, v133                          // 000000005594: D2A20081 00030B84
	v_cvt_pk_fp8_f32 v129, v134, v135 op_sel:[0,0,1]           // 00000000559C: D2A24081 00030F86
	ds_write_b32 v13, v128 offset:25088                        // 0000000055A4: D81A6200 0000800D
	ds_write_b32 v13, v129 offset:26112                        // 0000000055AC: D81A6600 0000810D
	v_mul_f32_e32 v192, v58, v192                              // 0000000055B4: 0B81813A
	v_mul_f32_e32 v193, v58, v193                              // 0000000055B8: 0B83833A
	v_mul_f32_e32 v194, v58, v194                              // 0000000055BC: 0B85853A
	v_mul_f32_e32 v195, v58, v195                              // 0000000055C0: 0B87873A
	v_rcp_f32_e32 v58, v62                                     // 0000000055C4: 7E74453E
	s_waitcnt lgkmcnt(0)                                       // 0000000055C8: BF8CC07F
	s_barrier                                                  // 0000000055CC: BF8A0000
	ds_read_b64 v[128:129], v12 offset:25088                   // 0000000055D0: D8EC6200 8000000C
	ds_read_b64 v[130:131], v12 offset:25216                   // 0000000055D8: D8EC6280 8200000C
	ds_read_b64 v[132:133], v12 offset:26112                   // 0000000055E0: D8EC6600 8400000C
	ds_read_b64 v[134:135], v12 offset:26240                   // 0000000055E8: D8EC6680 8600000C
	v_add_f32_e32 v224, v224, v192                             // 0000000055F0: 03C181E0
	v_add_f32_e32 v225, v225, v193                             // 0000000055F4: 03C383E1
	v_add_f32_e32 v226, v226, v194                             // 0000000055F8: 03C585E2
	v_add_f32_e32 v227, v227, v195                             // 0000000055FC: 03C787E3
	s_waitcnt lgkmcnt(3)                                       // 000000005600: BF8CC37F
	v_mov_b32_dpp v136, v128 row_shl:8 row_mask:0xf bank_mask:0xf bound_ctrl:1// 000000005604: 7F1002FA FF090880
	v_and_b32_e32 v128, v128, v9                               // 00000000560C: 27001380
	v_mov_b32_dpp v137, v129 row_shl:8 row_mask:0xf bank_mask:0xf bound_ctrl:1// 000000005610: 7F1202FA FF090881
	v_and_b32_e32 v129, v129, v9                               // 000000005618: 27021381
	s_waitcnt lgkmcnt(2)                                       // 00000000561C: BF8CC27F
	v_mov_b32_dpp v138, v130 row_shl:8 row_mask:0xf bank_mask:0xf bound_ctrl:1// 000000005620: 7F1402FA FF090882
	v_and_b32_e32 v130, v130, v9                               // 000000005628: 27041382
	v_mov_b32_dpp v139, v131 row_shl:8 row_mask:0xf bank_mask:0xf bound_ctrl:1// 00000000562C: 7F1602FA FF090883
	v_and_b32_e32 v131, v131, v9                               // 000000005634: 27061383
	s_waitcnt lgkmcnt(1)                                       // 000000005638: BF8CC17F
	v_mov_b32_dpp v140, v132 row_shl:8 row_mask:0xf bank_mask:0xf bound_ctrl:1// 00000000563C: 7F1802FA FF090884
	v_and_b32_e32 v132, v132, v9                               // 000000005644: 27081384
	v_mov_b32_dpp v141, v133 row_shl:8 row_mask:0xf bank_mask:0xf bound_ctrl:1// 000000005648: 7F1A02FA FF090885
	v_and_b32_e32 v133, v133, v9                               // 000000005650: 270A1385
	s_waitcnt lgkmcnt(0)                                       // 000000005654: BF8CC07F
	v_mov_b32_dpp v142, v134 row_shl:8 row_mask:0xf bank_mask:0xf bound_ctrl:1// 000000005658: 7F1C02FA FF090886
	v_and_b32_e32 v134, v134, v9                               // 000000005660: 270C1386
	v_mov_b32_dpp v143, v135 row_shl:8 row_mask:0xf bank_mask:0xf bound_ctrl:1// 000000005664: 7F1E02FA FF090887
	v_and_b32_e32 v135, v135, v9                               // 00000000566C: 270E1387
	s_waitcnt vmcnt(0)                                         // 000000005670: BF8C0F70
	s_barrier                                                  // 000000005674: BF8A0000
	v_mfma_f32_16x16x32_fp8_fp8 v[192:195], a[96:97], v[128:129], 0// 000000005678: D3F300C0 0A030160
	v_mfma_f32_16x16x32_fp8_fp8 v[192:195], a[98:99], v[130:131], v[192:195]// 000000005680: D3F300C0 0F030562
	v_mfma_f32_16x16x32_fp8_fp8 v[192:195], a[100:101], v[132:133], v[192:195]// 000000005688: D3F300C0 0F030964
	v_mfma_f32_16x16x32_fp8_fp8 v[192:195], a[102:103], v[134:135], v[192:195]// 000000005690: D3F300C0 0F030D66
	v_mfma_f32_16x16x32_fp8_fp8 v[192:195], a[104:105], v[136:137], v[192:195]// 000000005698: D3F300C0 0F031168
	v_mfma_f32_16x16x32_fp8_fp8 v[192:195], a[106:107], v[138:139], v[192:195]// 0000000056A0: D3F300C0 0F03156A
	v_mfma_f32_16x16x32_fp8_fp8 v[192:195], a[108:109], v[140:141], v[192:195]// 0000000056A8: D3F300C0 0F03196C
	v_mfma_f32_16x16x32_fp8_fp8 v[192:195], a[110:111], v[142:143], v[192:195]// 0000000056B0: D3F300C0 0F031D6E
	v_mfma_f32_16x16x32_fp8_fp8 v[196:199], a[112:113], v[128:129], 0// 0000000056B8: D3F300C4 0A030170
	v_mfma_f32_16x16x32_fp8_fp8 v[196:199], a[114:115], v[130:131], v[196:199]// 0000000056C0: D3F300C4 0F130572
	v_mfma_f32_16x16x32_fp8_fp8 v[196:199], a[116:117], v[132:133], v[196:199]// 0000000056C8: D3F300C4 0F130974
	v_mfma_f32_16x16x32_fp8_fp8 v[196:199], a[118:119], v[134:135], v[196:199]// 0000000056D0: D3F300C4 0F130D76
	v_mfma_f32_16x16x32_fp8_fp8 v[196:199], a[120:121], v[136:137], v[196:199]// 0000000056D8: D3F300C4 0F131178
	v_mfma_f32_16x16x32_fp8_fp8 v[196:199], a[122:123], v[138:139], v[196:199]// 0000000056E0: D3F300C4 0F13157A
	v_mfma_f32_16x16x32_fp8_fp8 v[196:199], a[124:125], v[140:141], v[196:199]// 0000000056E8: D3F300C4 0F13197C
	v_mfma_f32_16x16x32_fp8_fp8 v[196:199], a[126:127], v[142:143], v[196:199]// 0000000056F0: D3F300C4 0F131D7E
	s_nop 4                                                    // 0000000056F8: BF800004
	s_branch label_0D40                                        // 0000000056FC: BF820000

0000000000005700 <label_0D40>:
	v_mul_f32_e32 v224, v63, v224                              // 000000005700: 0BC1C13F
	v_mul_f32_e32 v225, v63, v225                              // 000000005704: 0BC3C33F
	v_mul_f32_e32 v226, v63, v226                              // 000000005708: 0BC5C53F
	v_mul_f32_e32 v227, v63, v227                              // 00000000570C: 0BC7C73F
	v_or_b32_dpp v192, v196, v192 row_shr:8 row_mask:0xf bank_mask:0xf bound_ctrl:1// 000000005710: 298180FA FF0918C4
	v_or_b32_dpp v193, v197, v193 row_shr:8 row_mask:0xf bank_mask:0xf bound_ctrl:1// 000000005718: 298382FA FF0918C5
	v_or_b32_dpp v194, v198, v194 row_shr:8 row_mask:0xf bank_mask:0xf bound_ctrl:1// 000000005720: 298584FA FF0918C6
	v_or_b32_dpp v195, v199, v195 row_shr:8 row_mask:0xf bank_mask:0xf bound_ctrl:1// 000000005728: 298786FA FF0918C7
	v_mul_f32_e32 v192, v58, v192                              // 000000005730: 0B81813A
	v_mul_f32_e32 v193, v58, v193                              // 000000005734: 0B83833A
	v_mul_f32_e32 v194, v58, v194                              // 000000005738: 0B85853A
	v_mul_f32_e32 v195, v58, v195                              // 00000000573C: 0B87873A
	v_add_f32_e32 v224, v224, v192                             // 000000005740: 03C181E0
	v_add_f32_e32 v225, v225, v193                             // 000000005744: 03C383E1
	v_add_f32_e32 v226, v226, v194                             // 000000005748: 03C585E2
	v_add_f32_e32 v227, v227, v195                             // 00000000574C: 03C787E3
	ds_write_b32 v11, v47 offset:16896                         // 000000005750: D81A4200 00002F0B
	s_waitcnt lgkmcnt(0)                                       // 000000005758: BF8CC07F
	s_barrier                                                  // 00000000575C: BF8A0000
	ds_read_b32 v80, v10 offset:16896                          // 000000005760: D86C4200 5000000A
	ds_read_b32 v81, v10 offset:16960                          // 000000005768: D86C4240 5100000A
	ds_read_b32 v82, v10 offset:17024                          // 000000005770: D86C4280 5200000A
	ds_read_b32 v83, v10 offset:17088                          // 000000005778: D86C42C0 5300000A
	ds_read_b32 v84, v10 offset:17152                          // 000000005780: D86C4300 5400000A
	ds_read_b32 v85, v10 offset:17216                          // 000000005788: D86C4340 5500000A
	ds_read_b32 v86, v10 offset:17280                          // 000000005790: D86C4380 5600000A
	ds_read_b32 v87, v10 offset:17344                          // 000000005798: D86C43C0 5700000A
	ds_read_b32 v88, v10 offset:17408                          // 0000000057A0: D86C4400 5800000A
	ds_read_b32 v89, v10 offset:17472                          // 0000000057A8: D86C4440 5900000A
	ds_read_b32 v90, v10 offset:17536                          // 0000000057B0: D86C4480 5A00000A
	ds_read_b32 v91, v10 offset:17600                          // 0000000057B8: D86C44C0 5B00000A
	ds_read_b32 v92, v10 offset:17664                          // 0000000057C0: D86C4500 5C00000A
	ds_read_b32 v93, v10 offset:17728                          // 0000000057C8: D86C4540 5D00000A
	ds_read_b32 v94, v10 offset:17792                          // 0000000057D0: D86C4580 5E00000A
	ds_read_b32 v95, v10 offset:17856                          // 0000000057D8: D86C45C0 5F00000A
	s_waitcnt lgkmcnt(0)                                       // 0000000057E0: BF8CC07F
	v_mov_b32_e32 v47, 0                                       // 0000000057E4: 7E5E0280
	v_add_f32_e32 v47, v80, v47                                // 0000000057E8: 025E5F50
	v_add_f32_e32 v47, v81, v47                                // 0000000057EC: 025E5F51
	v_add_f32_e32 v47, v82, v47                                // 0000000057F0: 025E5F52
	v_add_f32_e32 v47, v83, v47                                // 0000000057F4: 025E5F53
	v_add_f32_e32 v47, v84, v47                                // 0000000057F8: 025E5F54
	v_add_f32_e32 v47, v85, v47                                // 0000000057FC: 025E5F55
	v_add_f32_e32 v47, v86, v47                                // 000000005800: 025E5F56
	v_add_f32_e32 v47, v87, v47                                // 000000005804: 025E5F57
	v_add_f32_e32 v47, v88, v47                                // 000000005808: 025E5F58
	v_add_f32_e32 v47, v89, v47                                // 00000000580C: 025E5F59
	v_add_f32_e32 v47, v90, v47                                // 000000005810: 025E5F5A
	v_add_f32_e32 v47, v91, v47                                // 000000005814: 025E5F5B
	v_add_f32_e32 v47, v92, v47                                // 000000005818: 025E5F5C
	v_add_f32_e32 v47, v93, v47                                // 00000000581C: 025E5F5D
	v_add_f32_e32 v47, v94, v47                                // 000000005820: 025E5F5E
	v_add_f32_e32 v47, v95, v47                                // 000000005824: 025E5F5F
	s_nop 1                                                    // 000000005828: BF800001
	v_mov_b32_dpp v41, v47 row_ror:8 row_mask:0xf bank_mask:0xf// 00000000582C: 7E5202FA FF01282F
	v_add_f32_e32 v47, v47, v41                                // 000000005834: 025E532F
	v_rcp_f32_e32 v47, v47                                     // 000000005838: 7E5E452F
	s_nop 1                                                    // 00000000583C: BF800001
	v_mul_f32_e32 v224, v47, v224                              // 000000005840: 0BC1C12F
	v_mul_f32_e32 v225, v47, v225                              // 000000005844: 0BC3C32F
	v_mul_f32_e32 v226, v47, v226                              // 000000005848: 0BC5C52F
	v_mul_f32_e32 v227, v47, v227                              // 00000000584C: 0BC7C72F
	v_cvt_pkrtz_f16_f32 v41, v224, v225                        // 000000005850: D2960029 0003C3E0
	v_mov_b32_e32 v224, v41                                    // 000000005858: 7FC00329
	v_cvt_pkrtz_f16_f32 v41, v226, v227                        // 00000000585C: D2960029 0003C7E2
	v_mov_b32_e32 v225, v41                                    // 000000005864: 7FC20329
	s_nop 1                                                    // 000000005868: BF800001
	v_mov_b32_dpp v226, v224 row_shl:8 row_mask:0xf bank_mask:0xf bound_ctrl:1// 00000000586C: 7FC402FA FF0908E0
	v_and_b32_e32 v224, v224, v9                               // 000000005874: 27C013E0
	v_mov_b32_dpp v227, v225 row_shl:8 row_mask:0xf bank_mask:0xf bound_ctrl:1// 000000005878: 7FC602FA FF0908E1
	v_and_b32_e32 v225, v225, v9                               // 000000005880: 27C213E1
	v_lshrrev_b32_e32 v41, 4, v0                               // 000000005884: 20520084
	v_mul_i32_i24_e32 v5, 34, v41                              // 000000005888: 0C0A52A2
	v_and_b32_e32 v41, 15, v0                                  // 00000000588C: 2652008F
	v_mul_i32_i24_e32 v42, 2, v41                              // 000000005890: 0C545282
	v_add_u32_e32 v5, v42, v5                                  // 000000005894: 680A0B2A
	s_mul_i32 s60, s7, 0x88                                    // 000000005898: 923CFF07 00000088
	v_add_u32_e32 v5, s60, v5                                  // 0000000058A0: 680A0A3C
	v_lshlrev_b32_e32 v5, 2, v5                                // 0000000058A4: 240A0A82
	ds_write_b64 v5, v[224:225] offset:41472                   // 0000000058A8: D89AA200 0000E005
	ds_write_b64 v5, v[226:227] offset:43648                   // 0000000058B0: D89AAA80 0000E205
	v_lshrrev_b32_e32 v41, 1, v0                               // 0000000058B8: 20520081
	v_mul_i32_i24_e32 v5, 34, v41                              // 0000000058BC: 0C0A52A2
	v_and_b32_e32 v42, 1, v0                                   // 0000000058C0: 26540081
	v_add_u32_e32 v5, v42, v5                                  // 0000000058C4: 680A0B2A
	s_mul_i32 s60, s7, 2                                       // 0000000058C8: 923C8207
	v_add_u32_e32 v5, s60, v5                                  // 0000000058CC: 680A0A3C
	v_lshlrev_b32_e32 v5, 2, v5                                // 0000000058D0: 240A0A82
	s_waitcnt lgkmcnt(0)                                       // 0000000058D4: BF8CC07F
	s_barrier                                                  // 0000000058D8: BF8A0000
	ds_read_b32 v224, v5 offset:41472                          // 0000000058DC: D86CA200 E0000005
	ds_read_b32 v225, v5 offset:41504                          // 0000000058E4: D86CA220 E1000005
	s_waitcnt lgkmcnt(0)                                       // 0000000058EC: BF8CC07F
	buffer_store_dword v224, v8, s[8:11], 0 offen              // 0000000058F0: E0701000 8002E008
	buffer_store_dword v225, v8, s[8:11], 0 offen offset:1024  // 0000000058F8: E0701400 8002E108
	s_mul_i32 s60, 0x100, s77                                  // 000000005900: 923C4DFF 00000100
	s_add_u32 s8, s60, s8                                      // 000000005908: 8008083C
	s_addc_u32 s9, 0, s9                                       // 00000000590C: 82090980
	s_branch label_45A8                                        // 000000005910: BF8237E3

0000000000005914 <label_0DC5>:
	s_mul_i32 s60, s3, s65                                     // 000000005914: 923C4103
	s_mul_i32 s60, s60, 4                                      // 000000005918: 923C843C
	s_add_u32 s24, s60, s24                                    // 00000000591C: 8018183C
	s_addc_u32 s25, 0, s25                                     // 000000005920: 82191980
	s_mov_b32 s56, 64                                          // 000000005924: BEB800C0
	s_add_u32 s73, s72, 15                                     // 000000005928: 80498F48
	s_lshr_b32 s73, s73, 4                                     // 00000000592C: 8F498449
	s_mul_i32 s60, s73, 4                                      // 000000005930: 923C8449
	s_mov_b32 s26, s60                                         // 000000005934: BE9A003C
	s_sub_u32 s89, s72, s86                                    // 000000005938: 80D95648
	s_mov_b32 s90, 0xff                                        // 00000000593C: BEDA00FF 000000FF
	s_mov_b32 s91, 0x100                                       // 000000005944: BEDB00FF 00000100
	v_and_b32_e32 v42, 3, v0                                   // 00000000594C: 26540083
	v_cmp_eq_u32_e64 s[60:61], 0, v42                          // 000000005950: D0CA003C 00025480
	v_and_b32_e32 v41, 12, v0                                  // 000000005958: 2652008C
	v_add_u32_e32 v1, s7, v41                                  // 00000000595C: 68025207
	v_cndmask_b32_e64 v1, 0, v1, s[60:61]                      // 000000005960: D1000001 00F20280
	v_and_b32_e32 v42, 3, v0                                   // 000000005968: 26540083
	v_cmp_eq_u32_e64 s[60:61], 1, v42                          // 00000000596C: D0CA003C 00025481
	v_lshrrev_b32_e32 v41, 4, v0                               // 000000005974: 20520084
	v_and_b32_e32 v42, 12, v0                                  // 000000005978: 2654008C
	v_add_u32_e32 v41, v42, v41                                // 00000000597C: 6852532A
	v_cndmask_b32_e64 v41, 0, v41, s[60:61]                    // 000000005980: D1000029 00F25280
	v_add_u32_e32 v1, v1, v41                                  // 000000005988: 68025301
	v_lshlrev_b32_e32 v1, 2, v1                                // 00000000598C: 24020282
	buffer_load_dword v19, v1, s[24:27], 0 offen               // 000000005990: E0501000 80061301
	v_add_u32_e32 v1, s56, v1                                  // 000000005998: 68020238
	buffer_load_dword v20, v1, s[24:27], 0 offen               // 00000000599C: E0501000 80061401
	s_cmp_le_u32 s73, 32                                       // 0000000059A4: BF0BA049
	s_cselect_b32 s56, 0, s56                                  // 0000000059A8: 85383880
	s_mul_i32 s60, s2, s67                                     // 0000000059AC: 923C4302
	s_mul_i32 s61, s84, s74                                    // 0000000059B0: 923D4A54
	s_add_u32 s60, s60, s61                                    // 0000000059B4: 803C3D3C
	s_add_u32 s12, s60, s12                                    // 0000000059B8: 800C0C3C
	s_addc_u32 s13, 0, s13                                     // 0000000059BC: 820D0D80
	s_mul_i32 s60, s7, 0x108                                   // 0000000059C0: 923CFF07 00000108
	s_add_u32 m0, 0, s60                                       // 0000000059C8: 807C3C80
	s_mul_i32 s60, s7, 0x100                                   // 0000000059CC: 923CFF07 00000100
	v_lshlrev_b32_e32 v41, 2, v0                               // 0000000059D4: 24520082
	v_add_u32_e64 v41, v41, s60                                // 0000000059D8: D1340029 00007929
	v_add_u32_e32 v42, 0x400, v41                              // 0000000059E0: 685452FF 00000400
	buffer_load_dword v41, s[12:15], 0 offen lds               // 0000000059E8: E0511000 80030029
	s_mul_i32 s60, 4, 0x108                                    // 0000000059F0: 923CFF84 00000108
	s_add_u32 m0, m0, s60                                      // 0000000059F8: 807C3C7C
	buffer_load_dword v42, s[12:15], 0 offen lds               // 0000000059FC: E0511000 8003002A
	s_mul_i32 s60, 4, 0x108                                    // 000000005A04: 923CFF84 00000108
	s_add_u32 m0, m0, s60                                      // 000000005A0C: 807C3C7C
	s_add_u32 s12, s74, s12                                    // 000000005A10: 800C0C4A
	s_addc_u32 s13, 0, s13                                     // 000000005A14: 820D0D80
	buffer_load_dword v41, s[12:15], 0 offen lds               // 000000005A18: E0511000 80030029
	s_mul_i32 s60, 4, 0x108                                    // 000000005A20: 923CFF84 00000108
	s_add_u32 m0, m0, s60                                      // 000000005A28: 807C3C7C
	buffer_load_dword v42, s[12:15], 0 offen lds               // 000000005A2C: E0511000 8003002A
	s_mul_i32 s60, 4, 0x108                                    // 000000005A34: 923CFF84 00000108
	s_add_u32 m0, m0, s60                                      // 000000005A3C: 807C3C7C
	v_lshrrev_b32_e32 v41, 4, v0                               // 000000005A40: 20520084
	v_lshlrev_b32_e32 v41, 2, v41                              // 000000005A44: 24525282
	v_and_b32_e32 v42, 3, v0                                   // 000000005A48: 26540083
	v_add_u32_e32 v41, v42, v41                                // 000000005A4C: 6852532A
	v_lshlrev_b32_e32 v74, 2, v41                              // 000000005A50: 24945282
	v_mov_b32_e32 v75, v74                                     // 000000005A54: 7E96034A
	s_mul_i32 s60, s2, 64                                      // 000000005A58: 923CC002
	s_add_u32 s32, s60, s32                                    // 000000005A5C: 8020203C
	s_addc_u32 s33, 0, s33                                     // 000000005A60: 82212180
	s_add_u32 s36, s60, s36                                    // 000000005A64: 8024243C
	s_addc_u32 s37, 0, s37                                     // 000000005A68: 82252580
	s_mul_i32 s60, s2, s76                                     // 000000005A6C: 923C4C02
	s_mul_i32 s61, s84, s75                                    // 000000005A70: 923D4B54
	s_add_u32 s60, s60, s61                                    // 000000005A74: 803C3D3C
	s_add_u32 s8, s60, s8                                      // 000000005A78: 8008083C
	s_addc_u32 s9, 0, s9                                       // 000000005A7C: 82090980
	s_mov_b32 s70, 0                                           // 000000005A80: BEC60080
	s_and_b32 s71, s72, 0xffffff00                             // 000000005A84: 8647FF48 FFFFFF00
	s_mov_b32 s42, 0xff00ff00                                  // 000000005A8C: BEAA00FF FF00FF00
	s_mov_b32 s43, 0xff00ff00                                  // 000000005A94: BEAB00FF FF00FF00
	s_mov_b32 s44, 0xf0f0f0f0                                  // 000000005A9C: BEAC00FF F0F0F0F0
	s_mov_b32 s45, 0xf0f0f0f0                                  // 000000005AA4: BEAD00FF F0F0F0F0
	s_mov_b32 s78, 0xff00ff                                    // 000000005AAC: BECE00FF 00FF00FF
	s_mov_b32 s79, 0xff00ff                                    // 000000005AB4: BECF00FF 00FF00FF
	v_mul_i32_i24_e64 v78, 64, s66                             // 000000005ABC: D106004E 000084C0
	v_mov_b32_e32 v68, s68                                     // 000000005AC4: 7E880244
	s_mov_b32 s52, 0x7060302                                   // 000000005AC8: BEB400FF 07060302
	s_mov_b32 s53, 0x400                                       // 000000005AD0: BEB500FF 00000400
	s_mov_b32 s54, 0x40100                                     // 000000005AD8: BEB600FF 00040100
	s_mov_b32 s55, 0x4020100                                   // 000000005AE0: BEB700FF 04020100
	s_mov_b32 s6, 0x3fb8aa3b                                   // 000000005AE8: BE8600FF 3FB8AA3B
	v_mov_b32_e32 v14, 0xff800000                              // 000000005AF0: 7E1C02FF FF800000
	v_mov_b32_e32 v63, 0                                       // 000000005AF8: 7E7E0280
	v_mov_b32_e32 v47, 0                                       // 000000005AFC: 7E5E0280
	v_mov_b32_e32 v58, 0                                       // 000000005B00: 7E740280
	v_mov_b32_e32 v22, 0xffff0000                              // 000000005B04: 7E2C02FF FFFF0000
	v_mov_b32_e32 v23, 0x7fff0000                              // 000000005B0C: 7E2E02FF 7FFF0000
	v_mov_b32_e32 v24, 0x7fff                                  // 000000005B14: 7E3002FF 00007FFF
	v_add_u32_e32 v1, s56, v1                                  // 000000005B1C: 68020238
	v_and_b32_e32 v10, 15, v0                                  // 000000005B20: 2614008F
	v_lshlrev_b32_e32 v10, 2, v10                              // 000000005B24: 24141482
	v_lshlrev_b32_e32 v11, 2, v0                               // 000000005B28: 24160082
	s_mul_i32 s60, 0x100, s7                                   // 000000005B2C: 923C07FF 00000100
	v_add_u32_e32 v11, s60, v11                                // 000000005B34: 6816163C
	v_lshrrev_b32_e32 v41, 4, v0                               // 000000005B38: 20520084
	v_lshlrev_b32_e32 v42, 6, v41                              // 000000005B3C: 24545286
	v_and_b32_e32 v41, 15, v0                                  // 000000005B40: 2652008F
	v_lshlrev_b32_e32 v41, 1, v41                              // 000000005B44: 24525281
	v_add_u32_e32 v42, v41, v42                                // 000000005B48: 68545529
	v_lshlrev_b32_e32 v12, 2, v42                              // 000000005B4C: 24185482
	v_lshrrev_b32_e32 v41, 5, v0                               // 000000005B50: 20520085
	v_lshlrev_b32_e32 v42, 5, v41                              // 000000005B54: 24545285
	v_and_b32_e32 v41, 31, v0                                  // 000000005B58: 2652009F
	v_lshrrev_b32_e32 v43, 4, v41                              // 000000005B5C: 20565284
	v_add_u32_e32 v42, v43, v42                                // 000000005B60: 6854552B
	v_and_b32_e32 v41, 15, v0                                  // 000000005B64: 2652008F
	v_lshlrev_b32_e32 v41, 1, v41                              // 000000005B68: 24525281
	v_add_u32_e32 v42, v41, v42                                // 000000005B6C: 68545529
	v_lshlrev_b32_e32 v41, 2, v42                              // 000000005B70: 24525482
	s_mul_i32 s60, 0x100, s7                                   // 000000005B74: 923C07FF 00000100
	v_add_u32_e64 v13, v41, s60                                // 000000005B7C: D134000D 00007929
	v_lshlrev_b32_e32 v6, 4, v0                                // 000000005B84: 240C0084
	s_mul_i32 s60, s2, s69                                     // 000000005B88: 923C4502
	s_add_u32 s16, s60, s16                                    // 000000005B8C: 8010103C
	s_addc_u32 s17, 0, s17                                     // 000000005B90: 82111180
	v_and_b32_e32 v41, 15, v0                                  // 000000005B94: 2652008F
	v_lshlrev_b32_e32 v7, 4, v41                               // 000000005B98: 240E5284
	s_mul_i32 s61, s2, s69                                     // 000000005B9C: 923D4502
	s_mul_i32 s60, s7, 0x100                                   // 000000005BA0: 923CFF07 00000100
	s_add_u32 s60, s60, s61                                    // 000000005BA8: 803C3D3C
	s_add_u32 s20, s60, s20                                    // 000000005BAC: 8014143C
	s_addc_u32 s21, 0, s21                                     // 000000005BB0: 82151580
	s_waitcnt vmcnt(4)                                         // 000000005BB4: BF8C0F74
	v_mul_u32_u24_dpp v41, v19, v68 row_newbcast:0 row_mask:0xf bank_mask:0xf// 000000005BB8: 105288FA FF015013
	v_mul_u32_u24_dpp v42, v19, v68 row_newbcast:4 row_mask:0xf bank_mask:0xf// 000000005BC0: 105488FA FF015413
	v_mul_u32_u24_dpp v43, v19, v68 row_newbcast:8 row_mask:0xf bank_mask:0xf// 000000005BC8: 105688FA FF015813
	v_mul_u32_u24_dpp v44, v19, v68 row_newbcast:12 row_mask:0xf bank_mask:0xf// 000000005BD0: 105888FA FF015C13
	v_add_u32_e32 v25, v41, v6                                 // 000000005BD8: 68320D29
	v_add_u32_e32 v26, v42, v6                                 // 000000005BDC: 68340D2A
	v_add_u32_e32 v27, v43, v6                                 // 000000005BE0: 68360D2B
	v_add_u32_e32 v28, v44, v6                                 // 000000005BE4: 68380D2C
	v_mul_u32_u24_dpp v41, v19, v68 row_newbcast:1 row_mask:0xf bank_mask:0xf// 000000005BE8: 105288FA FF015113
	v_mul_u32_u24_dpp v42, v19, v68 row_newbcast:5 row_mask:0xf bank_mask:0xf// 000000005BF0: 105488FA FF015513
	v_mul_u32_u24_dpp v43, v19, v68 row_newbcast:9 row_mask:0xf bank_mask:0xf// 000000005BF8: 105688FA FF015913
	v_mul_u32_u24_dpp v44, v19, v68 row_newbcast:13 row_mask:0xf bank_mask:0xf// 000000005C00: 105888FA FF015D13
	v_add_u32_e32 v33, v41, v7                                 // 000000005C08: 68420F29
	v_add_u32_e32 v34, v42, v7                                 // 000000005C0C: 68440F2A
	v_add_u32_e32 v35, v43, v7                                 // 000000005C10: 68460F2B
	v_add_u32_e32 v36, v44, v7                                 // 000000005C14: 68480F2C
	v_mul_u32_u24_dpp v41, v19, v78 quad_perm:[0,0,0,0] row_mask:0xf bank_mask:0xf// 000000005C18: 10529CFA FF000013
	v_add_u32_e32 v2, v41, v74                                 // 000000005C20: 68049529
	v_mul_u32_u24_dpp v41, v19, v78 quad_perm:[0,0,0,0] row_mask:0xf bank_mask:0xf// 000000005C24: 10529CFA FF000013
	v_add_u32_e32 v70, v41, v75                                // 000000005C2C: 688C9729
	buffer_load_dword v52, v2, s[32:35], 0 offen               // 000000005C30: E0501000 80083402
	buffer_load_dwordx4 a[0:3], v25, s[16:19], 0 offen         // 000000005C38: E05C1000 80840019
	buffer_load_dwordx4 a[4:7], v25, s[16:19], 0 offen offset:1024// 000000005C40: E05C1400 80840419
	buffer_load_dwordx4 a[8:11], v26, s[16:19], 0 offen        // 000000005C48: E05C1000 8084081A
	buffer_load_dwordx4 a[12:15], v26, s[16:19], 0 offen offset:1024// 000000005C50: E05C1400 80840C1A
	buffer_load_dwordx4 a[16:19], v27, s[16:19], 0 offen       // 000000005C58: E05C1000 8084101B
	buffer_load_dwordx4 a[20:23], v27, s[16:19], 0 offen offset:1024// 000000005C60: E05C1400 8084141B
	buffer_load_dwordx4 a[24:27], v28, s[16:19], 0 offen       // 000000005C68: E05C1000 8084181C
	buffer_load_dwordx4 a[28:31], v28, s[16:19], 0 offen offset:1024// 000000005C70: E05C1400 80841C1C
	buffer_load_dword v72, v70, s[36:39], 0 offen              // 000000005C78: E0501000 80094846
	buffer_load_dwordx4 a[64:67], v33, s[20:23], 0 offen       // 000000005C80: E05C1000 80854021
	buffer_load_dwordx4 a[68:71], v34, s[20:23], 0 offen       // 000000005C88: E05C1000 80854422
	buffer_load_dwordx4 a[72:75], v35, s[20:23], 0 offen       // 000000005C90: E05C1000 80854823
	buffer_load_dwordx4 a[76:79], v36, s[20:23], 0 offen       // 000000005C98: E05C1000 80854C24
	buffer_load_dwordx4 a[80:83], v33, s[20:23], 0 offen offset:1024// 000000005CA0: E05C1400 80855021
	buffer_load_dwordx4 a[84:87], v34, s[20:23], 0 offen offset:1024// 000000005CA8: E05C1400 80855422
	buffer_load_dwordx4 a[88:91], v35, s[20:23], 0 offen offset:1024// 000000005CB0: E05C1400 80855823
	buffer_load_dwordx4 a[92:95], v36, s[20:23], 0 offen offset:1024// 000000005CB8: E05C1400 80855C24
	v_lshrrev_b32_e32 v41, 4, v0                               // 000000005CC0: 20520084
	v_lshlrev_b32_e32 v42, 1, v41                              // 000000005CC4: 24545281
	v_and_b32_e32 v41, 15, v0                                  // 000000005CC8: 2652008F
	v_mul_i32_i24_e32 v41, 0x42, v41                           // 000000005CCC: 0C5252FF 00000042
	v_add_u32_e32 v42, v41, v42                                // 000000005CD4: 68545529
	v_lshlrev_b32_e32 v4, 2, v42                               // 000000005CD8: 24085482
	s_mul_i32 s60, s7, 32                                      // 000000005CDC: 923CA007
	v_add_u32_e32 v4, s60, v4                                  // 000000005CE0: 6808083C
	s_waitcnt vmcnt(16) lgkmcnt(0)                             // 000000005CE4: BF8C4070
	s_barrier                                                  // 000000005CE8: BF8A0000
	ds_read_b64 v[96:97], v4                                   // 000000005CEC: D8EC0000 60000004
	ds_read_b64 v[100:101], v4 offset:128                      // 000000005CF4: D8EC0080 64000004
	s_waitcnt lgkmcnt(0)                                       // 000000005CFC: BF8CC07F
	v_and_b32_e32 v41, 0xffff, v96                             // 000000005D00: 2652C0FF 0000FFFF
	v_lshrrev_b32_e32 v42, 16, v96                             // 000000005D08: 2054C090
	v_and_b32_e32 v43, 0xffff, v97                             // 000000005D0C: 2656C2FF 0000FFFF
	v_lshrrev_b32_e32 v44, 16, v97                             // 000000005D14: 2058C290
	v_cvt_f32_f16_e32 v96, v41                                 // 000000005D18: 7EC01729
	v_cvt_f32_f16_e32 v97, v42                                 // 000000005D1C: 7EC2172A
	v_cvt_f32_f16_e32 v98, v43                                 // 000000005D20: 7EC4172B
	v_cvt_f32_f16_e32 v99, v44                                 // 000000005D24: 7EC6172C
	v_and_b32_e32 v41, 0xffff, v100                            // 000000005D28: 2652C8FF 0000FFFF
	v_lshrrev_b32_e32 v42, 16, v100                            // 000000005D30: 2054C890
	v_and_b32_e32 v43, 0xffff, v101                            // 000000005D34: 2656CAFF 0000FFFF
	v_lshrrev_b32_e32 v44, 16, v101                            // 000000005D3C: 2058CA90
	v_cvt_f32_f16_e32 v100, v41                                // 000000005D40: 7EC81729
	v_cvt_f32_f16_e32 v101, v42                                // 000000005D44: 7ECA172A
	v_cvt_f32_f16_e32 v102, v43                                // 000000005D48: 7ECC172B
	v_cvt_f32_f16_e32 v103, v44                                // 000000005D4C: 7ECE172C
	v_mov_b32_e32 v62, 0x358637bd                              // 000000005D50: 7E7C02FF 358637BD
	v_max3_f32 v62, |v96|, |v97|, v62                          // 000000005D58: D1D3033E 04FAC360
	v_max3_f32 v62, |v98|, |v99|, v62                          // 000000005D60: D1D3033E 04FAC762
	v_max3_f32 v62, |v100|, |v101|, v62                        // 000000005D68: D1D3033E 04FACB64
	v_max3_f32 v62, |v102|, |v103|, v62                        // 000000005D70: D1D3033E 04FACF66
	ds_write_b32 v11, v62 offset:16896                         // 000000005D78: D81A4200 00003E0B
	s_waitcnt lgkmcnt(0)                                       // 000000005D80: BF8CC07F
	s_barrier                                                  // 000000005D84: BF8A0000
	ds_read_b32 v80, v10 offset:16896                          // 000000005D88: D86C4200 5000000A
	ds_read_b32 v81, v10 offset:16960                          // 000000005D90: D86C4240 5100000A
	ds_read_b32 v82, v10 offset:17024                          // 000000005D98: D86C4280 5200000A
	ds_read_b32 v83, v10 offset:17088                          // 000000005DA0: D86C42C0 5300000A
	ds_read_b32 v84, v10 offset:17152                          // 000000005DA8: D86C4300 5400000A
	ds_read_b32 v85, v10 offset:17216                          // 000000005DB0: D86C4340 5500000A
	ds_read_b32 v86, v10 offset:17280                          // 000000005DB8: D86C4380 5600000A
	ds_read_b32 v87, v10 offset:17344                          // 000000005DC0: D86C43C0 5700000A
	ds_read_b32 v88, v10 offset:17408                          // 000000005DC8: D86C4400 5800000A
	ds_read_b32 v89, v10 offset:17472                          // 000000005DD0: D86C4440 5900000A
	ds_read_b32 v90, v10 offset:17536                          // 000000005DD8: D86C4480 5A00000A
	ds_read_b32 v91, v10 offset:17600                          // 000000005DE0: D86C44C0 5B00000A
	ds_read_b32 v92, v10 offset:17664                          // 000000005DE8: D86C4500 5C00000A
	ds_read_b32 v93, v10 offset:17728                          // 000000005DF0: D86C4540 5D00000A
	ds_read_b32 v94, v10 offset:17792                          // 000000005DF8: D86C4580 5E00000A
	ds_read_b32 v95, v10 offset:17856                          // 000000005E00: D86C45C0 5F00000A
	s_waitcnt lgkmcnt(0)                                       // 000000005E08: BF8CC07F
	v_max3_f32 v62, |v80|, |v81|, v62                          // 000000005E0C: D1D3033E 04FAA350
	v_max3_f32 v62, |v82|, |v83|, v62                          // 000000005E14: D1D3033E 04FAA752
	v_max3_f32 v62, |v84|, |v85|, v62                          // 000000005E1C: D1D3033E 04FAAB54
	v_max3_f32 v62, |v86|, |v87|, v62                          // 000000005E24: D1D3033E 04FAAF56
	v_max3_f32 v62, |v88|, |v89|, v62                          // 000000005E2C: D1D3033E 04FAB358
	v_max3_f32 v62, |v90|, |v91|, v62                          // 000000005E34: D1D3033E 04FAB75A
	v_max3_f32 v62, |v92|, |v93|, v62                          // 000000005E3C: D1D3033E 04FABB5C
	v_max3_f32 v62, |v94|, |v95|, v62                          // 000000005E44: D1D3033E 04FABF5E
	v_rcp_f32_e32 v62, v62                                     // 000000005E4C: 7E7C453E
	s_nop 1                                                    // 000000005E50: BF800001
	v_mul_f32_e32 v62, 0x43e00000, v62                         // 000000005E54: 0A7C7CFF 43E00000
	v_mul_f32_e32 v96, v62, v96                                // 000000005E5C: 0AC0C13E
	v_mul_f32_e32 v97, v62, v97                                // 000000005E60: 0AC2C33E
	v_mul_f32_e32 v98, v62, v98                                // 000000005E64: 0AC4C53E
	v_mul_f32_e32 v99, v62, v99                                // 000000005E68: 0AC6C73E
	v_mul_f32_e32 v100, v62, v100                              // 000000005E6C: 0AC8C93E
	v_mul_f32_e32 v101, v62, v101                              // 000000005E70: 0ACACB3E
	v_mul_f32_e32 v102, v62, v102                              // 000000005E74: 0ACCCD3E
	v_mul_f32_e32 v103, v62, v103                              // 000000005E78: 0ACECF3E
	v_rcp_f32_e32 v54, v62                                     // 000000005E7C: 7E6C453E
	v_cvt_pk_fp8_f32 v96, v96, v97                             // 000000005E80: D2A20060 0002C360
	v_cvt_pk_fp8_f32 v96, v98, v99 op_sel:[0,0,1]              // 000000005E88: D2A24060 0002C762
	v_cvt_pk_fp8_f32 v97, v100, v101                           // 000000005E90: D2A20061 0002CB64
	v_cvt_pk_fp8_f32 v97, v102, v103 op_sel:[0,0,1]            // 000000005E98: D2A24061 0002CF66
	ds_write_b32 v13, v96 offset:25088                         // 000000005EA0: D81A6200 0000600D
	ds_write_b32 v13, v97 offset:26112                         // 000000005EA8: D81A6600 0000610D
	s_waitcnt lgkmcnt(0)                                       // 000000005EB0: BF8CC07F
	s_barrier                                                  // 000000005EB4: BF8A0000
	ds_read_b64 v[96:97], v12 offset:25088                     // 000000005EB8: D8EC6200 6000000C
	ds_read_b64 v[98:99], v12 offset:25216                     // 000000005EC0: D8EC6280 6200000C
	ds_read_b64 v[100:101], v12 offset:26112                   // 000000005EC8: D8EC6600 6400000C
	ds_read_b64 v[102:103], v12 offset:26240                   // 000000005ED0: D8EC6680 6600000C
	v_mov_b32_e32 v224, 0                                      // 000000005ED8: 7FC00280
	v_mov_b32_e32 v225, 0                                      // 000000005EDC: 7FC20280
	v_mov_b32_e32 v226, 0                                      // 000000005EE0: 7FC40280
	v_mov_b32_e32 v227, 0                                      // 000000005EE4: 7FC60280
	v_mov_b32_e32 v228, 0                                      // 000000005EE8: 7FC80280
	v_mov_b32_e32 v229, 0                                      // 000000005EEC: 7FCA0280
	v_mov_b32_e32 v230, 0                                      // 000000005EF0: 7FCC0280
	v_mov_b32_e32 v231, 0                                      // 000000005EF4: 7FCE0280
	v_mov_b32_e32 v192, 0                                      // 000000005EF8: 7F800280
	v_mov_b32_e32 v193, 0                                      // 000000005EFC: 7F820280
	v_mov_b32_e32 v194, 0                                      // 000000005F00: 7F840280
	v_mov_b32_e32 v195, 0                                      // 000000005F04: 7F860280
	v_mov_b32_e32 v196, 0                                      // 000000005F08: 7F880280
	v_mov_b32_e32 v197, 0                                      // 000000005F0C: 7F8A0280
	v_mov_b32_e32 v198, 0                                      // 000000005F10: 7F8C0280
	v_mov_b32_e32 v199, 0                                      // 000000005F14: 7F8E0280
	s_waitcnt vmcnt(8) lgkmcnt(0)                              // 000000005F18: BF8C0078
	s_barrier                                                  // 000000005F1C: BF8A0000
	s_cmp_lt_u32 s73, 16                                       // 000000005F20: BF0A9049
	s_cbranch_scc1 label_1A61                                  // 000000005F24: BF850B17
	s_cmp_lt_i32 s7, 2                                         // 000000005F28: BF048207
	s_cbranch_scc0 label_14D8                                  // 000000005F2C: BF84058C

0000000000005f30 <label_0F4C>:
	s_waitcnt vmcnt(8) lgkmcnt(0)                              // 000000005F30: BF8C0078
	v_mul_u32_u24_dpp v41, v20, v68 row_newbcast:0 row_mask:0xf bank_mask:0xf// 000000005F34: 105288FA FF015014
	v_mul_u32_u24_dpp v42, v20, v68 row_newbcast:4 row_mask:0xf bank_mask:0xf// 000000005F3C: 105488FA FF015414
	v_mul_u32_u24_dpp v43, v20, v68 row_newbcast:8 row_mask:0xf bank_mask:0xf// 000000005F44: 105688FA FF015814
	v_mul_u32_u24_dpp v44, v20, v68 row_newbcast:12 row_mask:0xf bank_mask:0xf// 000000005F4C: 105888FA FF015C14
	v_add_u32_e32 v29, v41, v6                                 // 000000005F54: 683A0D29
	v_add_u32_e32 v30, v42, v6                                 // 000000005F58: 683C0D2A
	v_add_u32_e32 v31, v43, v6                                 // 000000005F5C: 683E0D2B
	v_add_u32_e32 v32, v44, v6                                 // 000000005F60: 68400D2C
	v_mul_u32_u24_dpp v41, v20, v78 quad_perm:[0,0,0,0] row_mask:0xf bank_mask:0xf// 000000005F64: 10529CFA FF000014
	v_add_u32_e32 v3, v41, v74                                 // 000000005F6C: 68069529
	v_mul_u32_u24_dpp v41, v20, v78 quad_perm:[0,0,0,0] row_mask:0xf bank_mask:0xf// 000000005F70: 10529CFA FF000014
	v_add_u32_e32 v71, v41, v75                                // 000000005F78: 688E9729
	v_mfma_f32_16x16x32_fp8_fp8 v[128:131], a[0:1], v[96:97], 0// 000000005F7C: D3F30080 0A02C100
	v_mfma_f32_16x16x32_fp8_fp8 v[128:131], a[2:3], v[98:99], v[128:131]// 000000005F84: D3F30080 0E02C502
	buffer_load_dwordx4 a[32:35], v29, s[16:19], 0 offen       // 000000005F8C: E05C1000 8084201D
	v_mfma_f32_16x16x32_fp8_fp8 v[128:131], a[4:5], v[100:101], v[128:131]// 000000005F94: D3F30080 0E02C904
	v_mfma_f32_16x16x32_fp8_fp8 v[128:131], a[6:7], v[102:103], v[128:131]// 000000005F9C: D3F30080 0E02CD06
	buffer_load_dword v19, v1, s[24:27], 0 offen               // 000000005FA4: E0501000 80061301
	v_mfma_f32_16x16x32_fp8_fp8 v[132:135], a[8:9], v[96:97], 0// 000000005FAC: D3F30084 0A02C108
	v_mfma_f32_16x16x32_fp8_fp8 v[132:135], a[10:11], v[98:99], v[132:135]// 000000005FB4: D3F30084 0E12C50A
	buffer_load_dwordx4 a[36:39], v29, s[16:19], 0 offen offset:1024// 000000005FBC: E05C1400 8084241D
	v_mfma_f32_16x16x32_fp8_fp8 v[132:135], a[12:13], v[100:101], v[132:135]// 000000005FC4: D3F30084 0E12C90C
	v_mfma_f32_16x16x32_fp8_fp8 v[132:135], a[14:15], v[102:103], v[132:135]// 000000005FCC: D3F30084 0E12CD0E
	v_mfma_f32_16x16x32_fp8_fp8 v[136:139], a[16:17], v[96:97], 0// 000000005FD4: D3F30088 0A02C110
	v_mfma_f32_16x16x32_fp8_fp8 v[136:139], a[18:19], v[98:99], v[136:139]// 000000005FDC: D3F30088 0E22C512
	buffer_load_dwordx4 a[40:43], v30, s[16:19], 0 offen       // 000000005FE4: E05C1000 8084281E
	v_mfma_f32_16x16x32_fp8_fp8 v[136:139], a[20:21], v[100:101], v[136:139]// 000000005FEC: D3F30088 0E22C914
	v_mfma_f32_16x16x32_fp8_fp8 v[136:139], a[22:23], v[102:103], v[136:139]// 000000005FF4: D3F30088 0E22CD16
	v_mfma_f32_16x16x32_fp8_fp8 v[140:143], a[24:25], v[96:97], 0// 000000005FFC: D3F3008C 0A02C118
	v_mfma_f32_16x16x32_fp8_fp8 v[140:143], a[26:27], v[98:99], v[140:143]// 000000006004: D3F3008C 0E32C51A
	buffer_load_dwordx4 a[44:47], v30, s[16:19], 0 offen offset:1024// 00000000600C: E05C1400 80842C1E
	v_mfma_f32_16x16x32_fp8_fp8 v[140:143], a[28:29], v[100:101], v[140:143]// 000000006014: D3F3008C 0E32C91C
	v_mfma_f32_16x16x32_fp8_fp8 v[140:143], a[30:31], v[102:103], v[140:143]// 00000000601C: D3F3008C 0E32CD1E
	buffer_load_dword v53, v3, s[32:35], 0 offen               // 000000006024: E0501000 80083503
	v_mov_b32_dpp v41, v52 row_shr:4 row_mask:0xf bank_mask:0xf// 00000000602C: 7E5202FA FF011434
	v_mov_b32_dpp v42, v52 row_shl:4 row_mask:0xf bank_mask:0xf// 000000006034: 7E5402FA FF010434
	v_cndmask_b32_e64 v248, v52, v41, s[44:45]                 // 00000000603C: D10000F8 00B25334
	v_cndmask_b32_e64 v249, v42, v52, s[44:45]                 // 000000006044: D10000F9 00B2692A
	v_mov_b32_dpp v41, v248 row_shr:8 row_mask:0xf bank_mask:0xf// 00000000604C: 7E5202FA FF0118F8
	v_mov_b32_dpp v42, v248 row_shl:8 row_mask:0xf bank_mask:0xf// 000000006054: 7E5402FA FF0108F8
	v_mov_b32_dpp v43, v249 row_shr:8 row_mask:0xf bank_mask:0xf// 00000000605C: 7E5602FA FF0118F9
	v_mov_b32_dpp v44, v249 row_shl:8 row_mask:0xf bank_mask:0xf// 000000006064: 7E5802FA FF0108F9
	v_mov_b32_e32 v45, v248                                    // 00000000606C: 7E5A03F8
	v_mov_b32_e32 v46, v249                                    // 000000006070: 7E5C03F9
	v_cndmask_b32_e64 v248, v45, v41, s[42:43]                 // 000000006074: D10000F8 00AA532D
	v_cndmask_b32_e64 v250, v45, v42, s[78:79]                 // 00000000607C: D10000FA 013A552D
	v_cndmask_b32_e64 v249, v46, v43, s[42:43]                 // 000000006084: D10000F9 00AA572E
	v_cndmask_b32_e64 v251, v46, v44, s[78:79]                 // 00000000608C: D10000FB 013A592E
	v_mov_b32_dpp v41, v72 row_shr:4 row_mask:0xf bank_mask:0xf// 000000006094: 7E5202FA FF011448
	v_mov_b32_dpp v42, v72 row_shl:4 row_mask:0xf bank_mask:0xf// 00000000609C: 7E5402FA FF010448
	v_cndmask_b32_e64 v252, v72, v41, s[44:45]                 // 0000000060A4: D10000FC 00B25348
	v_cndmask_b32_e64 v253, v42, v72, s[44:45]                 // 0000000060AC: D10000FD 00B2912A
	v_mov_b32_dpp v41, v252 row_shr:8 row_mask:0xf bank_mask:0xf// 0000000060B4: 7E5202FA FF0118FC
	v_mov_b32_dpp v42, v252 row_shl:8 row_mask:0xf bank_mask:0xf// 0000000060BC: 7E5402FA FF0108FC
	v_mov_b32_dpp v43, v253 row_shr:8 row_mask:0xf bank_mask:0xf// 0000000060C4: 7E5602FA FF0118FD
	v_mov_b32_dpp v44, v253 row_shl:8 row_mask:0xf bank_mask:0xf// 0000000060CC: 7E5802FA FF0108FD
	v_mov_b32_e32 v45, v252                                    // 0000000060D4: 7E5A03FC
	v_mov_b32_e32 v46, v253                                    // 0000000060D8: 7E5C03FD
	v_cndmask_b32_e64 v252, v45, v41, s[42:43]                 // 0000000060DC: D10000FC 00AA532D
	v_cndmask_b32_e64 v254, v45, v42, s[78:79]                 // 0000000060E4: D10000FE 013A552D
	v_cndmask_b32_e64 v253, v46, v43, s[42:43]                 // 0000000060EC: D10000FD 00AA572E
	v_cndmask_b32_e64 v255, v46, v44, s[78:79]                 // 0000000060F4: D10000FF 013A592E
	buffer_load_dword v73, v71, s[36:39], 0 offen              // 0000000060FC: E0501000 80094947
	v_mul_f32_e32 v128, v54, v128                              // 000000006104: 0B010136
	v_mul_f32_e32 v129, v54, v129                              // 000000006108: 0B030336
	v_mul_f32_e32 v130, v54, v130                              // 00000000610C: 0B050536
	v_mul_f32_e32 v131, v54, v131                              // 000000006110: 0B070736
	v_mul_f32_e32 v132, v54, v132                              // 000000006114: 0B090936
	v_mul_f32_e32 v133, v54, v133                              // 000000006118: 0B0B0B36
	v_mul_f32_e32 v134, v54, v134                              // 00000000611C: 0B0D0D36
	v_mul_f32_e32 v135, v54, v135                              // 000000006120: 0B0F0F36
	v_mul_f32_e32 v136, v54, v136                              // 000000006124: 0B111136
	v_mul_f32_e32 v137, v54, v137                              // 000000006128: 0B131336
	v_mul_f32_e32 v138, v54, v138                              // 00000000612C: 0B151536
	v_mul_f32_e32 v139, v54, v139                              // 000000006130: 0B171736
	v_mul_f32_e32 v140, v54, v140                              // 000000006134: 0B191936
	v_mul_f32_e32 v141, v54, v141                              // 000000006138: 0B1B1B36
	v_mul_f32_e32 v142, v54, v142                              // 00000000613C: 0B1D1D36
	v_mul_f32_e32 v143, v54, v143                              // 000000006140: 0B1F1F36
	buffer_load_dwordx4 a[48:51], v31, s[16:19], 0 offen       // 000000006144: E05C1000 8084301F
	v_mul_f32_dpp v128, v248, v128 quad_perm:[0,0,0,0] row_mask:0xf bank_mask:0xf// 00000000614C: 0B0100FA FF0000F8
	v_mul_f32_dpp v129, v248, v129 quad_perm:[1,1,1,1] row_mask:0xf bank_mask:0xf// 000000006154: 0B0302FA FF0055F8
	v_mul_f32_dpp v130, v248, v130 quad_perm:[2,2,2,2] row_mask:0xf bank_mask:0xf// 00000000615C: 0B0504FA FF00AAF8
	v_mul_f32_dpp v131, v248, v131 quad_perm:[3,3,3,3] row_mask:0xf bank_mask:0xf// 000000006164: 0B0706FA FF00FFF8
	v_mul_f32_dpp v132, v249, v132 quad_perm:[0,0,0,0] row_mask:0xf bank_mask:0xf// 00000000616C: 0B0908FA FF0000F9
	v_mul_f32_dpp v133, v249, v133 quad_perm:[1,1,1,1] row_mask:0xf bank_mask:0xf// 000000006174: 0B0B0AFA FF0055F9
	v_mul_f32_dpp v134, v249, v134 quad_perm:[2,2,2,2] row_mask:0xf bank_mask:0xf// 00000000617C: 0B0D0CFA FF00AAF9
	v_mul_f32_dpp v135, v249, v135 quad_perm:[3,3,3,3] row_mask:0xf bank_mask:0xf// 000000006184: 0B0F0EFA FF00FFF9
	v_mul_f32_dpp v136, v250, v136 quad_perm:[0,0,0,0] row_mask:0xf bank_mask:0xf// 00000000618C: 0B1110FA FF0000FA
	v_mul_f32_dpp v137, v250, v137 quad_perm:[1,1,1,1] row_mask:0xf bank_mask:0xf// 000000006194: 0B1312FA FF0055FA
	v_mul_f32_dpp v138, v250, v138 quad_perm:[2,2,2,2] row_mask:0xf bank_mask:0xf// 00000000619C: 0B1514FA FF00AAFA
	v_mul_f32_dpp v139, v250, v139 quad_perm:[3,3,3,3] row_mask:0xf bank_mask:0xf// 0000000061A4: 0B1716FA FF00FFFA
	v_mul_f32_dpp v140, v251, v140 quad_perm:[0,0,0,0] row_mask:0xf bank_mask:0xf// 0000000061AC: 0B1918FA FF0000FB
	v_mul_f32_dpp v141, v251, v141 quad_perm:[1,1,1,1] row_mask:0xf bank_mask:0xf// 0000000061B4: 0B1B1AFA FF0055FB
	v_mul_f32_dpp v142, v251, v142 quad_perm:[2,2,2,2] row_mask:0xf bank_mask:0xf// 0000000061BC: 0B1D1CFA FF00AAFB
	v_mul_f32_dpp v143, v251, v143 quad_perm:[3,3,3,3] row_mask:0xf bank_mask:0xf// 0000000061C4: 0B1F1EFA FF00FFFB
	buffer_load_dwordx4 a[52:55], v31, s[16:19], 0 offen offset:1024// 0000000061CC: E05C1400 8084341F
	s_cmp_le_i32 s90, s89                                      // 0000000061D4: BF05595A
	s_cbranch_scc1 label_106A                                  // 0000000061D8: BF850073
	v_mov_b32_e32 v69, 0xff800000                              // 0000000061DC: 7E8A02FF FF800000
	s_mov_b32 s60, s90                                         // 0000000061E4: BEBC005A
	s_add_u32 s61, s89, 0xff                                   // 0000000061E8: 803DFF59 000000FF
	v_mov_b32_e32 v41, s61                                     // 0000000061F0: 7E52023D
	v_lshrrev_b32_e32 v240, 4, v0                              // 0000000061F4: 21E00084
	v_mul_i32_i24_e32 v240, 4, v240                            // 0000000061F8: 0DE1E084
	v_add_u32_e32 v240, s60, v240                              // 0000000061FC: 69E1E03C
	v_and_b32_e32 v42, 15, v0                                  // 000000006200: 2654008F
	v_lshrrev_b32_e32 v42, 3, v42                              // 000000006204: 20545483
	s_mov_b32 s61, 0                                           // 000000006208: BEBD0080
	s_mul_i32 s60, 16, s7                                      // 00000000620C: 923C0790
	v_add_u32_e32 v42, s61, v42                                // 000000006210: 6854543D
	v_sub_u32_e32 v240, v240, v42                              // 000000006214: 6BE055F0
	v_add_u32_e32 v240, s60, v240                              // 000000006218: 69E1E03C
	v_add_u32_e32 v241, 1, v240                                // 00000000621C: 69E3E081
	v_add_u32_e32 v242, 2, v240                                // 000000006220: 69E5E082
	v_add_u32_e32 v243, 3, v240                                // 000000006224: 69E7E083
	v_cmp_le_u32_e64 s[40:41], v240, v41                       // 000000006228: D0CB0028 000253F0
	v_add_u32_e32 v240, 64, v240                               // 000000006230: 69E1E0C0
	s_nop 0                                                    // 000000006234: BF800000
	v_cndmask_b32_e64 v128, v69, v128, s[40:41]                // 000000006238: D1000080 00A30145
	v_cmp_le_u32_e64 s[40:41], v241, v41                       // 000000006240: D0CB0028 000253F1
	v_add_u32_e32 v241, 64, v241                               // 000000006248: 69E3E2C0
	s_nop 0                                                    // 00000000624C: BF800000
	v_cndmask_b32_e64 v129, v69, v129, s[40:41]                // 000000006250: D1000081 00A30345
	v_cmp_le_u32_e64 s[40:41], v242, v41                       // 000000006258: D0CB0028 000253F2
	v_add_u32_e32 v242, 64, v242                               // 000000006260: 69E5E4C0
	s_nop 0                                                    // 000000006264: BF800000
	v_cndmask_b32_e64 v130, v69, v130, s[40:41]                // 000000006268: D1000082 00A30545
	v_cmp_le_u32_e64 s[40:41], v243, v41                       // 000000006270: D0CB0028 000253F3
	v_add_u32_e32 v243, 64, v243                               // 000000006278: 69E7E6C0
	s_nop 0                                                    // 00000000627C: BF800000
	v_cndmask_b32_e64 v131, v69, v131, s[40:41]                // 000000006280: D1000083 00A30745
	v_cmp_le_u32_e64 s[40:41], v240, v41                       // 000000006288: D0CB0028 000253F0
	v_add_u32_e32 v240, 64, v240                               // 000000006290: 69E1E0C0
	s_nop 0                                                    // 000000006294: BF800000
	v_cndmask_b32_e64 v132, v69, v132, s[40:41]                // 000000006298: D1000084 00A30945
	v_cmp_le_u32_e64 s[40:41], v241, v41                       // 0000000062A0: D0CB0028 000253F1
	v_add_u32_e32 v241, 64, v241                               // 0000000062A8: 69E3E2C0
	s_nop 0                                                    // 0000000062AC: BF800000
	v_cndmask_b32_e64 v133, v69, v133, s[40:41]                // 0000000062B0: D1000085 00A30B45
	v_cmp_le_u32_e64 s[40:41], v242, v41                       // 0000000062B8: D0CB0028 000253F2
	v_add_u32_e32 v242, 64, v242                               // 0000000062C0: 69E5E4C0
	s_nop 0                                                    // 0000000062C4: BF800000
	v_cndmask_b32_e64 v134, v69, v134, s[40:41]                // 0000000062C8: D1000086 00A30D45
	v_cmp_le_u32_e64 s[40:41], v243, v41                       // 0000000062D0: D0CB0028 000253F3
	v_add_u32_e32 v243, 64, v243                               // 0000000062D8: 69E7E6C0
	s_nop 0                                                    // 0000000062DC: BF800000
	v_cndmask_b32_e64 v135, v69, v135, s[40:41]                // 0000000062E0: D1000087 00A30F45
	v_cmp_le_u32_e64 s[40:41], v240, v41                       // 0000000062E8: D0CB0028 000253F0
	v_add_u32_e32 v240, 64, v240                               // 0000000062F0: 69E1E0C0
	s_nop 0                                                    // 0000000062F4: BF800000
	v_cndmask_b32_e64 v136, v69, v136, s[40:41]                // 0000000062F8: D1000088 00A31145
	v_cmp_le_u32_e64 s[40:41], v241, v41                       // 000000006300: D0CB0028 000253F1
	v_add_u32_e32 v241, 64, v241                               // 000000006308: 69E3E2C0
	s_nop 0                                                    // 00000000630C: BF800000
	v_cndmask_b32_e64 v137, v69, v137, s[40:41]                // 000000006310: D1000089 00A31345
	v_cmp_le_u32_e64 s[40:41], v242, v41                       // 000000006318: D0CB0028 000253F2
	v_add_u32_e32 v242, 64, v242                               // 000000006320: 69E5E4C0
	s_nop 0                                                    // 000000006324: BF800000
	v_cndmask_b32_e64 v138, v69, v138, s[40:41]                // 000000006328: D100008A 00A31545
	v_cmp_le_u32_e64 s[40:41], v243, v41                       // 000000006330: D0CB0028 000253F3
	v_add_u32_e32 v243, 64, v243                               // 000000006338: 69E7E6C0
	s_nop 0                                                    // 00000000633C: BF800000
	v_cndmask_b32_e64 v139, v69, v139, s[40:41]                // 000000006340: D100008B 00A31745
	v_cmp_le_u32_e64 s[40:41], v240, v41                       // 000000006348: D0CB0028 000253F0
	v_add_u32_e32 v240, 64, v240                               // 000000006350: 69E1E0C0
	s_nop 0                                                    // 000000006354: BF800000
	v_cndmask_b32_e64 v140, v69, v140, s[40:41]                // 000000006358: D100008C 00A31945
	v_cmp_le_u32_e64 s[40:41], v241, v41                       // 000000006360: D0CB0028 000253F1
	v_add_u32_e32 v241, 64, v241                               // 000000006368: 69E3E2C0
	s_nop 0                                                    // 00000000636C: BF800000
	v_cndmask_b32_e64 v141, v69, v141, s[40:41]                // 000000006370: D100008D 00A31B45
	v_cmp_le_u32_e64 s[40:41], v242, v41                       // 000000006378: D0CB0028 000253F2
	v_add_u32_e32 v242, 64, v242                               // 000000006380: 69E5E4C0
	s_nop 0                                                    // 000000006384: BF800000
	v_cndmask_b32_e64 v142, v69, v142, s[40:41]                // 000000006388: D100008E 00A31D45
	v_cmp_le_u32_e64 s[40:41], v243, v41                       // 000000006390: D0CB0028 000253F3
	v_add_u32_e32 v243, 64, v243                               // 000000006398: 69E7E6C0
	s_nop 0                                                    // 00000000639C: BF800000
	v_cndmask_b32_e64 v143, v69, v143, s[40:41]                // 0000000063A0: D100008F 00A31F45

00000000000063a8 <label_106A>:
	s_add_u32 s90, s91, s90                                    // 0000000063A8: 805A5A5B
	v_mov_b32_e32 v62, v128                                    // 0000000063AC: 7E7C0380
	v_max3_f32 v62, v128, v129, v62                            // 0000000063B0: D1D3003E 04FB0380
	v_max3_f32 v62, v130, v131, v62                            // 0000000063B8: D1D3003E 04FB0782
	v_max3_f32 v62, v132, v133, v62                            // 0000000063C0: D1D3003E 04FB0B84
	v_max3_f32 v62, v134, v135, v62                            // 0000000063C8: D1D3003E 04FB0F86
	v_max3_f32 v62, v136, v137, v62                            // 0000000063D0: D1D3003E 04FB1388
	v_max3_f32 v62, v138, v139, v62                            // 0000000063D8: D1D3003E 04FB178A
	v_max3_f32 v62, v140, v141, v62                            // 0000000063E0: D1D3003E 04FB1B8C
	v_max3_f32 v62, v142, v143, v62                            // 0000000063E8: D1D3003E 04FB1F8E
	ds_write_b32 v11, v62 offset:16896                         // 0000000063F0: D81A4200 00003E0B
	buffer_load_dwordx4 a[56:59], v32, s[16:19], 0 offen       // 0000000063F8: E05C1000 80843820
	v_mul_u32_u24_dpp v41, v20, v68 row_newbcast:1 row_mask:0xf bank_mask:0xf// 000000006400: 105288FA FF015114
	v_mul_u32_u24_dpp v42, v20, v68 row_newbcast:5 row_mask:0xf bank_mask:0xf// 000000006408: 105488FA FF015514
	v_mul_u32_u24_dpp v43, v20, v68 row_newbcast:9 row_mask:0xf bank_mask:0xf// 000000006410: 105688FA FF015914
	v_mul_u32_u24_dpp v44, v20, v68 row_newbcast:13 row_mask:0xf bank_mask:0xf// 000000006418: 105888FA FF015D14
	v_add_u32_e32 v37, v41, v7                                 // 000000006420: 684A0F29
	v_add_u32_e32 v38, v42, v7                                 // 000000006424: 684C0F2A
	v_add_u32_e32 v39, v43, v7                                 // 000000006428: 684E0F2B
	v_add_u32_e32 v40, v44, v7                                 // 00000000642C: 68500F2C
	v_mul_f32_e32 v224, v63, v224                              // 000000006430: 0BC1C13F
	v_mul_f32_e32 v225, v63, v225                              // 000000006434: 0BC3C33F
	v_mul_f32_e32 v226, v63, v226                              // 000000006438: 0BC5C53F
	v_mul_f32_e32 v227, v63, v227                              // 00000000643C: 0BC7C73F
	v_mul_f32_e32 v228, v63, v228                              // 000000006440: 0BC9C93F
	v_mul_f32_e32 v229, v63, v229                              // 000000006444: 0BCBCB3F
	v_mul_f32_e32 v230, v63, v230                              // 000000006448: 0BCDCD3F
	v_mul_f32_e32 v231, v63, v231                              // 00000000644C: 0BCFCF3F
	s_waitcnt lgkmcnt(0)                                       // 000000006450: BF8CC07F
	s_barrier                                                  // 000000006454: BF8A0000
	ds_read_b32 v80, v10 offset:16896                          // 000000006458: D86C4200 5000000A
	ds_read_b32 v81, v10 offset:16960                          // 000000006460: D86C4240 5100000A
	ds_read_b32 v82, v10 offset:17024                          // 000000006468: D86C4280 5200000A
	ds_read_b32 v83, v10 offset:17088                          // 000000006470: D86C42C0 5300000A
	ds_read_b32 v84, v10 offset:17152                          // 000000006478: D86C4300 5400000A
	ds_read_b32 v85, v10 offset:17216                          // 000000006480: D86C4340 5500000A
	ds_read_b32 v86, v10 offset:17280                          // 000000006488: D86C4380 5600000A
	ds_read_b32 v87, v10 offset:17344                          // 000000006490: D86C43C0 5700000A
	ds_read_b32 v88, v10 offset:17408                          // 000000006498: D86C4400 5800000A
	ds_read_b32 v89, v10 offset:17472                          // 0000000064A0: D86C4440 5900000A
	ds_read_b32 v90, v10 offset:17536                          // 0000000064A8: D86C4480 5A00000A
	ds_read_b32 v91, v10 offset:17600                          // 0000000064B0: D86C44C0 5B00000A
	ds_read_b32 v92, v10 offset:17664                          // 0000000064B8: D86C4500 5C00000A
	ds_read_b32 v93, v10 offset:17728                          // 0000000064C0: D86C4540 5D00000A
	ds_read_b32 v94, v10 offset:17792                          // 0000000064C8: D86C4580 5E00000A
	ds_read_b32 v95, v10 offset:17856                          // 0000000064D0: D86C45C0 5F00000A
	buffer_load_dwordx4 a[60:63], v32, s[16:19], 0 offen offset:1024// 0000000064D8: E05C1400 80843C20
	v_mul_f32_e32 v192, v58, v192                              // 0000000064E0: 0B81813A
	v_mul_f32_e32 v193, v58, v193                              // 0000000064E4: 0B83833A
	v_mul_f32_e32 v194, v58, v194                              // 0000000064E8: 0B85853A
	v_mul_f32_e32 v195, v58, v195                              // 0000000064EC: 0B87873A
	v_mul_f32_e32 v196, v58, v196                              // 0000000064F0: 0B89893A
	v_mul_f32_e32 v197, v58, v197                              // 0000000064F4: 0B8B8B3A
	v_mul_f32_e32 v198, v58, v198                              // 0000000064F8: 0B8D8D3A
	v_mul_f32_e32 v199, v58, v199                              // 0000000064FC: 0B8F8F3A
	s_waitcnt lgkmcnt(0)                                       // 000000006500: BF8CC07F
	v_max3_f32 v62, v80, v81, v62                              // 000000006504: D1D3003E 04FAA350
	v_max3_f32 v62, v82, v83, v62                              // 00000000650C: D1D3003E 04FAA752
	v_max3_f32 v62, v84, v85, v62                              // 000000006514: D1D3003E 04FAAB54
	v_max3_f32 v62, v86, v87, v62                              // 00000000651C: D1D3003E 04FAAF56
	v_max3_f32 v62, v88, v89, v62                              // 000000006524: D1D3003E 04FAB358
	v_max3_f32 v62, v90, v91, v62                              // 00000000652C: D1D3003E 04FAB75A
	v_max3_f32 v62, v92, v93, v62                              // 000000006534: D1D3003E 04FABB5C
	v_max3_f32 v62, v94, v95, v62                              // 00000000653C: D1D3003E 04FABF5E
	buffer_load_dwordx4 a[96:99], v37, s[20:23], 0 offen       // 000000006544: E05C1000 80856025
	v_mov_b32_e32 v41, 0xff800000                              // 00000000654C: 7E5202FF FF800000
	v_cmp_eq_u32_e64 s[40:41], v41, v14                        // 000000006554: D0CA0028 00021D29
	s_nop 1                                                    // 00000000655C: BF800001
	v_max_f32_e32 v18, v62, v14                                // 000000006560: 16241D3E
	v_mul_f32_e32 v67, s64, v18                                // 000000006564: 0A862440
	v_fma_f32 v128, v128, s64, -v67                            // 000000006568: D1CB0080 850C8180
	v_fma_f32 v129, v129, s64, -v67                            // 000000006570: D1CB0081 850C8181
	v_fma_f32 v130, v130, s64, -v67                            // 000000006578: D1CB0082 850C8182
	v_fma_f32 v131, v131, s64, -v67                            // 000000006580: D1CB0083 850C8183
	v_fma_f32 v132, v132, s64, -v67                            // 000000006588: D1CB0084 850C8184
	v_fma_f32 v133, v133, s64, -v67                            // 000000006590: D1CB0085 850C8185
	v_fma_f32 v134, v134, s64, -v67                            // 000000006598: D1CB0086 850C8186
	v_fma_f32 v135, v135, s64, -v67                            // 0000000065A0: D1CB0087 850C8187
	v_fma_f32 v136, v136, s64, -v67                            // 0000000065A8: D1CB0088 850C8188
	v_fma_f32 v137, v137, s64, -v67                            // 0000000065B0: D1CB0089 850C8189
	v_fma_f32 v138, v138, s64, -v67                            // 0000000065B8: D1CB008A 850C818A
	v_fma_f32 v139, v139, s64, -v67                            // 0000000065C0: D1CB008B 850C818B
	v_fma_f32 v140, v140, s64, -v67                            // 0000000065C8: D1CB008C 850C818C
	v_fma_f32 v141, v141, s64, -v67                            // 0000000065D0: D1CB008D 850C818D
	v_fma_f32 v142, v142, s64, -v67                            // 0000000065D8: D1CB008E 850C818E
	v_fma_f32 v143, v143, s64, -v67                            // 0000000065E0: D1CB008F 850C818F
	buffer_load_dwordx4 a[100:103], v38, s[20:23], 0 offen     // 0000000065E8: E05C1000 80856426
	v_exp_f32_e32 v128, v128                                   // 0000000065F0: 7F004180
	v_exp_f32_e32 v129, v129                                   // 0000000065F4: 7F024181
	v_exp_f32_e32 v130, v130                                   // 0000000065F8: 7F044182
	v_exp_f32_e32 v131, v131                                   // 0000000065FC: 7F064183
	v_exp_f32_e32 v132, v132                                   // 000000006600: 7F084184
	v_exp_f32_e32 v133, v133                                   // 000000006604: 7F0A4185
	v_exp_f32_e32 v134, v134                                   // 000000006608: 7F0C4186
	v_exp_f32_e32 v135, v135                                   // 00000000660C: 7F0E4187
	v_exp_f32_e32 v136, v136                                   // 000000006610: 7F104188
	v_exp_f32_e32 v137, v137                                   // 000000006614: 7F124189
	v_exp_f32_e32 v138, v138                                   // 000000006618: 7F14418A
	v_exp_f32_e32 v139, v139                                   // 00000000661C: 7F16418B
	v_exp_f32_e32 v140, v140                                   // 000000006620: 7F18418C
	v_exp_f32_e32 v141, v141                                   // 000000006624: 7F1A418D
	v_exp_f32_e32 v142, v142                                   // 000000006628: 7F1C418E
	v_exp_f32_e32 v143, v143                                   // 00000000662C: 7F1E418F
	buffer_load_dwordx4 a[104:107], v39, s[20:23], 0 offen     // 000000006630: E05C1000 80856827
	v_mul_f32_dpp v240, v252, v128 quad_perm:[0,0,0,0] row_mask:0xf bank_mask:0xf// 000000006638: 0BE100FA FF0000FC
	v_mul_f32_dpp v241, v252, v129 quad_perm:[1,1,1,1] row_mask:0xf bank_mask:0xf// 000000006640: 0BE302FA FF0055FC
	v_mul_f32_dpp v242, v252, v130 quad_perm:[2,2,2,2] row_mask:0xf bank_mask:0xf// 000000006648: 0BE504FA FF00AAFC
	v_mul_f32_dpp v243, v252, v131 quad_perm:[3,3,3,3] row_mask:0xf bank_mask:0xf// 000000006650: 0BE706FA FF00FFFC
	v_mul_f32_dpp v244, v253, v132 quad_perm:[0,0,0,0] row_mask:0xf bank_mask:0xf// 000000006658: 0BE908FA FF0000FD
	v_mul_f32_dpp v245, v253, v133 quad_perm:[1,1,1,1] row_mask:0xf bank_mask:0xf// 000000006660: 0BEB0AFA FF0055FD
	v_mul_f32_dpp v246, v253, v134 quad_perm:[2,2,2,2] row_mask:0xf bank_mask:0xf// 000000006668: 0BED0CFA FF00AAFD
	v_mul_f32_dpp v247, v253, v135 quad_perm:[3,3,3,3] row_mask:0xf bank_mask:0xf// 000000006670: 0BEF0EFA FF00FFFD
	v_mul_f32_dpp v248, v254, v136 quad_perm:[0,0,0,0] row_mask:0xf bank_mask:0xf// 000000006678: 0BF110FA FF0000FE
	v_mul_f32_dpp v249, v254, v137 quad_perm:[1,1,1,1] row_mask:0xf bank_mask:0xf// 000000006680: 0BF312FA FF0055FE
	v_mul_f32_dpp v250, v254, v138 quad_perm:[2,2,2,2] row_mask:0xf bank_mask:0xf// 000000006688: 0BF514FA FF00AAFE
	v_mul_f32_dpp v251, v254, v139 quad_perm:[3,3,3,3] row_mask:0xf bank_mask:0xf// 000000006690: 0BF716FA FF00FFFE
	v_mul_f32_dpp v252, v255, v140 quad_perm:[0,0,0,0] row_mask:0xf bank_mask:0xf// 000000006698: 0BF918FA FF0000FF
	v_mul_f32_dpp v253, v255, v141 quad_perm:[1,1,1,1] row_mask:0xf bank_mask:0xf// 0000000066A0: 0BFB1AFA FF0055FF
	v_mul_f32_dpp v254, v255, v142 quad_perm:[2,2,2,2] row_mask:0xf bank_mask:0xf// 0000000066A8: 0BFD1CFA FF00AAFF
	v_mul_f32_dpp v255, v255, v143 quad_perm:[3,3,3,3] row_mask:0xf bank_mask:0xf// 0000000066B0: 0BFF1EFA FF00FFFF
	v_mov_b32_e32 v62, 0x358637bd                              // 0000000066B8: 7E7C02FF 358637BD
	v_max3_f32 v62, |v240|, |v241|, v62                        // 0000000066C0: D1D3033E 04FBE3F0
	v_max3_f32 v62, |v242|, |v243|, v62                        // 0000000066C8: D1D3033E 04FBE7F2
	v_max3_f32 v62, |v244|, |v245|, v62                        // 0000000066D0: D1D3033E 04FBEBF4
	v_max3_f32 v62, |v246|, |v247|, v62                        // 0000000066D8: D1D3033E 04FBEFF6
	v_max3_f32 v62, |v248|, |v249|, v62                        // 0000000066E0: D1D3033E 04FBF3F8
	v_max3_f32 v62, |v250|, |v251|, v62                        // 0000000066E8: D1D3033E 04FBF7FA
	v_max3_f32 v62, |v252|, |v253|, v62                        // 0000000066F0: D1D3033E 04FBFBFC
	v_max3_f32 v62, |v254|, |v255|, v62                        // 0000000066F8: D1D3033E 04FBFFFE
	buffer_load_dwordx4 a[108:111], v40, s[20:23], 0 offen     // 000000006700: E05C1000 80856C28
	ds_write_b32 v11, v62 offset:20992                         // 000000006708: D81A5200 00003E0B
	v_sub_f32_e32 v63, v14, v18                                // 000000006710: 047E250E
	v_cndmask_b32_e64 v63, v63, 0, s[40:41]                    // 000000006714: D100003F 00A1013F
	v_mov_b32_e32 v14, v18                                     // 00000000671C: 7E1C0312
	v_mul_f32_e32 v63, s64, v63                                // 000000006720: 0A7E7E40
	v_exp_f32_e32 v63, v63                                     // 000000006724: 7E7E413F
	s_waitcnt lgkmcnt(0)                                       // 000000006728: BF8CC07F
	s_barrier                                                  // 00000000672C: BF8A0000
	ds_read_b32 v80, v10 offset:20992                          // 000000006730: D86C5200 5000000A
	ds_read_b32 v81, v10 offset:21056                          // 000000006738: D86C5240 5100000A
	ds_read_b32 v82, v10 offset:21120                          // 000000006740: D86C5280 5200000A
	ds_read_b32 v83, v10 offset:21184                          // 000000006748: D86C52C0 5300000A
	ds_read_b32 v84, v10 offset:21248                          // 000000006750: D86C5300 5400000A
	ds_read_b32 v85, v10 offset:21312                          // 000000006758: D86C5340 5500000A
	ds_read_b32 v86, v10 offset:21376                          // 000000006760: D86C5380 5600000A
	ds_read_b32 v87, v10 offset:21440                          // 000000006768: D86C53C0 5700000A
	ds_read_b32 v88, v10 offset:21504                          // 000000006770: D86C5400 5800000A
	ds_read_b32 v89, v10 offset:21568                          // 000000006778: D86C5440 5900000A
	ds_read_b32 v90, v10 offset:21632                          // 000000006780: D86C5480 5A00000A
	ds_read_b32 v91, v10 offset:21696                          // 000000006788: D86C54C0 5B00000A
	ds_read_b32 v92, v10 offset:21760                          // 000000006790: D86C5500 5C00000A
	ds_read_b32 v93, v10 offset:21824                          // 000000006798: D86C5540 5D00000A
	ds_read_b32 v94, v10 offset:21888                          // 0000000067A0: D86C5580 5E00000A
	ds_read_b32 v95, v10 offset:21952                          // 0000000067A8: D86C55C0 5F00000A
	v_mul_f32_e32 v47, v63, v47                                // 0000000067B0: 0A5E5F3F
	v_mov_b32_e32 v18, v128                                    // 0000000067B4: 7E240380
	v_add_f32_e32 v18, v129, v18                               // 0000000067B8: 02242581
	v_add_f32_e32 v18, v130, v18                               // 0000000067BC: 02242582
	v_add_f32_e32 v18, v131, v18                               // 0000000067C0: 02242583
	v_add_f32_e32 v18, v132, v18                               // 0000000067C4: 02242584
	v_add_f32_e32 v18, v133, v18                               // 0000000067C8: 02242585
	v_add_f32_e32 v18, v134, v18                               // 0000000067CC: 02242586
	v_add_f32_e32 v18, v135, v18                               // 0000000067D0: 02242587
	v_add_f32_e32 v18, v136, v18                               // 0000000067D4: 02242588
	v_add_f32_e32 v18, v137, v18                               // 0000000067D8: 02242589
	v_add_f32_e32 v18, v138, v18                               // 0000000067DC: 0224258A
	v_add_f32_e32 v18, v139, v18                               // 0000000067E0: 0224258B
	v_add_f32_e32 v18, v140, v18                               // 0000000067E4: 0224258C
	v_add_f32_e32 v18, v141, v18                               // 0000000067E8: 0224258D
	v_add_f32_e32 v18, v142, v18                               // 0000000067EC: 0224258E
	v_add_f32_e32 v18, v143, v18                               // 0000000067F0: 0224258F
	v_add_f32_e32 v47, v18, v47                                // 0000000067F4: 025E5F12
	s_waitcnt lgkmcnt(0)                                       // 0000000067F8: BF8CC07F
	v_max3_f32 v62, |v80|, |v81|, v62                          // 0000000067FC: D1D3033E 04FAA350
	v_max3_f32 v62, |v82|, |v83|, v62                          // 000000006804: D1D3033E 04FAA752
	v_max3_f32 v62, |v84|, |v85|, v62                          // 00000000680C: D1D3033E 04FAAB54
	v_max3_f32 v62, |v86|, |v87|, v62                          // 000000006814: D1D3033E 04FAAF56
	v_max3_f32 v62, |v88|, |v89|, v62                          // 00000000681C: D1D3033E 04FAB358
	v_max3_f32 v62, |v90|, |v91|, v62                          // 000000006824: D1D3033E 04FAB75A
	v_max3_f32 v62, |v92|, |v93|, v62                          // 00000000682C: D1D3033E 04FABB5C
	v_max3_f32 v62, |v94|, |v95|, v62                          // 000000006834: D1D3033E 04FABF5E
	s_nop 2                                                    // 00000000683C: BF800002
	v_rcp_f32_e32 v62, v62                                     // 000000006840: 7E7C453E
	s_nop 1                                                    // 000000006844: BF800001
	v_mul_f32_e32 v62, 0x43e00000, v62                         // 000000006848: 0A7C7CFF 43E00000
	v_mul_f32_e32 v128, v62, v240                              // 000000006850: 0B01E13E
	v_mul_f32_e32 v129, v62, v241                              // 000000006854: 0B03E33E
	v_mul_f32_e32 v130, v62, v242                              // 000000006858: 0B05E53E
	v_mul_f32_e32 v131, v62, v243                              // 00000000685C: 0B07E73E
	v_mul_f32_e32 v132, v62, v244                              // 000000006860: 0B09E93E
	v_mul_f32_e32 v133, v62, v245                              // 000000006864: 0B0BEB3E
	v_mul_f32_e32 v134, v62, v246                              // 000000006868: 0B0DED3E
	v_mul_f32_e32 v135, v62, v247                              // 00000000686C: 0B0FEF3E
	v_mul_f32_e32 v136, v62, v248                              // 000000006870: 0B11F13E
	v_mul_f32_e32 v137, v62, v249                              // 000000006874: 0B13F33E
	v_mul_f32_e32 v138, v62, v250                              // 000000006878: 0B15F53E
	v_mul_f32_e32 v139, v62, v251                              // 00000000687C: 0B17F73E
	v_mul_f32_e32 v140, v62, v252                              // 000000006880: 0B19F93E
	v_mul_f32_e32 v141, v62, v253                              // 000000006884: 0B1BFB3E
	v_mul_f32_e32 v142, v62, v254                              // 000000006888: 0B1DFD3E
	v_mul_f32_e32 v143, v62, v255                              // 00000000688C: 0B1FFF3E
	v_cvt_pk_fp8_f32 v128, v128, v129                          // 000000006890: D2A20080 00030380
	v_cvt_pk_fp8_f32 v128, v130, v131 op_sel:[0,0,1]           // 000000006898: D2A24080 00030782
	v_cvt_pk_fp8_f32 v129, v132, v133                          // 0000000068A0: D2A20081 00030B84
	v_cvt_pk_fp8_f32 v129, v134, v135 op_sel:[0,0,1]           // 0000000068A8: D2A24081 00030F86
	v_cvt_pk_fp8_f32 v130, v136, v137                          // 0000000068B0: D2A20082 00031388
	v_cvt_pk_fp8_f32 v130, v138, v139 op_sel:[0,0,1]           // 0000000068B8: D2A24082 0003178A
	v_cvt_pk_fp8_f32 v131, v140, v141                          // 0000000068C0: D2A20083 00031B8C
	v_cvt_pk_fp8_f32 v131, v142, v143 op_sel:[0,0,1]           // 0000000068C8: D2A24083 00031F8E
	ds_write_b32 v13, v128 offset:25088                        // 0000000068D0: D81A6200 0000800D
	ds_write_b32 v13, v129 offset:26112                        // 0000000068D8: D81A6600 0000810D
	ds_write_b32 v13, v130 offset:27136                        // 0000000068E0: D81A6A00 0000820D
	ds_write_b32 v13, v131 offset:28160                        // 0000000068E8: D81A6E00 0000830D
	v_add_f32_e32 v224, v224, v192                             // 0000000068F0: 03C181E0
	v_add_f32_e32 v225, v225, v193                             // 0000000068F4: 03C383E1
	v_add_f32_e32 v226, v226, v194                             // 0000000068F8: 03C585E2
	v_add_f32_e32 v227, v227, v195                             // 0000000068FC: 03C787E3
	v_add_f32_e32 v228, v228, v196                             // 000000006900: 03C989E4
	v_add_f32_e32 v229, v229, v197                             // 000000006904: 03CB8BE5
	v_add_f32_e32 v230, v230, v198                             // 000000006908: 03CD8DE6
	v_add_f32_e32 v231, v231, v199                             // 00000000690C: 03CF8FE7
	v_rcp_f32_e32 v58, v62                                     // 000000006910: 7E74453E
	s_waitcnt lgkmcnt(0)                                       // 000000006914: BF8CC07F
	s_barrier                                                  // 000000006918: BF8A0000
	ds_read_b64 v[128:129], v12 offset:25088                   // 00000000691C: D8EC6200 8000000C
	ds_read_b64 v[130:131], v12 offset:25216                   // 000000006924: D8EC6280 8200000C
	ds_read_b64 v[132:133], v12 offset:26112                   // 00000000692C: D8EC6600 8400000C
	ds_read_b64 v[134:135], v12 offset:26240                   // 000000006934: D8EC6680 8600000C
	ds_read_b64 v[136:137], v12 offset:27136                   // 00000000693C: D8EC6A00 8800000C
	ds_read_b64 v[138:139], v12 offset:27264                   // 000000006944: D8EC6A80 8A00000C
	ds_read_b64 v[140:141], v12 offset:28160                   // 00000000694C: D8EC6E00 8C00000C
	ds_read_b64 v[142:143], v12 offset:28288                   // 000000006954: D8EC6E80 8E00000C
	s_waitcnt vmcnt(15)                                        // 00000000695C: BF8C0F7F
	s_waitcnt lgkmcnt(7)                                       // 000000006960: BF8CC77F
	v_mfma_f32_16x16x32_fp8_fp8 v[192:195], a[64:65], v[128:129], 0// 000000006964: D3F300C0 0A030140
	s_waitcnt lgkmcnt(6)                                       // 00000000696C: BF8CC67F
	v_mfma_f32_16x16x32_fp8_fp8 v[192:195], a[66:67], v[130:131], v[192:195]// 000000006970: D3F300C0 0F030542
	buffer_load_dwordx4 a[112:115], v37, s[20:23], 0 offen offset:1024// 000000006978: E05C1400 80857025
	s_waitcnt lgkmcnt(5)                                       // 000000006980: BF8CC57F
	v_mfma_f32_16x16x32_fp8_fp8 v[192:195], a[68:69], v[132:133], v[192:195]// 000000006984: D3F300C0 0F030944
	s_waitcnt lgkmcnt(4)                                       // 00000000698C: BF8CC47F
	v_mfma_f32_16x16x32_fp8_fp8 v[192:195], a[70:71], v[134:135], v[192:195]// 000000006990: D3F300C0 0F030D46
	s_waitcnt lgkmcnt(3)                                       // 000000006998: BF8CC37F
	v_mfma_f32_16x16x32_fp8_fp8 v[192:195], a[72:73], v[136:137], v[192:195]// 00000000699C: D3F300C0 0F031148
	s_waitcnt lgkmcnt(2)                                       // 0000000069A4: BF8CC27F
	v_mfma_f32_16x16x32_fp8_fp8 v[192:195], a[74:75], v[138:139], v[192:195]// 0000000069A8: D3F300C0 0F03154A
	buffer_load_dwordx4 a[116:119], v38, s[20:23], 0 offen offset:1024// 0000000069B0: E05C1400 80857426
	s_waitcnt lgkmcnt(1)                                       // 0000000069B8: BF8CC17F
	v_mfma_f32_16x16x32_fp8_fp8 v[192:195], a[76:77], v[140:141], v[192:195]// 0000000069BC: D3F300C0 0F03194C
	s_waitcnt lgkmcnt(0)                                       // 0000000069C4: BF8CC07F
	v_mfma_f32_16x16x32_fp8_fp8 v[192:195], a[78:79], v[142:143], v[192:195]// 0000000069C8: D3F300C0 0F031D4E
	v_mfma_f32_16x16x32_fp8_fp8 v[196:199], a[80:81], v[128:129], 0// 0000000069D0: D3F300C4 0A030150
	v_mfma_f32_16x16x32_fp8_fp8 v[196:199], a[82:83], v[130:131], v[196:199]// 0000000069D8: D3F300C4 0F130552
	buffer_load_dwordx4 a[120:123], v39, s[20:23], 0 offen offset:1024// 0000000069E0: E05C1400 80857827
	v_mfma_f32_16x16x32_fp8_fp8 v[196:199], a[84:85], v[132:133], v[196:199]// 0000000069E8: D3F300C4 0F130954
	v_mfma_f32_16x16x32_fp8_fp8 v[196:199], a[86:87], v[134:135], v[196:199]// 0000000069F0: D3F300C4 0F130D56
	v_mfma_f32_16x16x32_fp8_fp8 v[196:199], a[88:89], v[136:137], v[196:199]// 0000000069F8: D3F300C4 0F131158
	v_mfma_f32_16x16x32_fp8_fp8 v[196:199], a[90:91], v[138:139], v[196:199]// 000000006A00: D3F300C4 0F13155A
	buffer_load_dwordx4 a[124:127], v40, s[20:23], 0 offen offset:1024// 000000006A08: E05C1400 80857C28
	v_mfma_f32_16x16x32_fp8_fp8 v[196:199], a[92:93], v[140:141], v[196:199]// 000000006A10: D3F300C4 0F13195C
	s_lshr_b32 s57, s70, 4                                     // 000000006A18: 8F398446
	s_add_u32 s57, 48, s57                                     // 000000006A1C: 803939B0
	v_mfma_f32_16x16x32_fp8_fp8 v[196:199], a[94:95], v[142:143], v[196:199]// 000000006A20: D3F300C4 0F131D5E
	s_cmp_ge_u32 s57, s73                                      // 000000006A28: BF094939
	s_cselect_b32 s56, 0, s56                                  // 000000006A2C: 85383880
	v_add_u32_e32 v1, s56, v1                                  // 000000006A30: 68020238
	s_addk_i32 s70, 0x100                                      // 000000006A34: B7460100
	s_cmp_lt_i32 s70, s71                                      // 000000006A38: BF044746
	s_cbranch_scc0 label_14D5                                  // 000000006A3C: BF8402C5
	s_waitcnt vmcnt(8) lgkmcnt(0)                              // 000000006A40: BF8C0078
	v_mul_u32_u24_dpp v41, v19, v68 row_newbcast:0 row_mask:0xf bank_mask:0xf// 000000006A44: 105288FA FF015013
	v_mul_u32_u24_dpp v42, v19, v68 row_newbcast:4 row_mask:0xf bank_mask:0xf// 000000006A4C: 105488FA FF015413
	v_mul_u32_u24_dpp v43, v19, v68 row_newbcast:8 row_mask:0xf bank_mask:0xf// 000000006A54: 105688FA FF015813
	v_mul_u32_u24_dpp v44, v19, v68 row_newbcast:12 row_mask:0xf bank_mask:0xf// 000000006A5C: 105888FA FF015C13
	v_add_u32_e32 v25, v41, v6                                 // 000000006A64: 68320D29
	v_add_u32_e32 v26, v42, v6                                 // 000000006A68: 68340D2A
	v_add_u32_e32 v27, v43, v6                                 // 000000006A6C: 68360D2B
	v_add_u32_e32 v28, v44, v6                                 // 000000006A70: 68380D2C
	v_mul_u32_u24_dpp v41, v19, v78 quad_perm:[0,0,0,0] row_mask:0xf bank_mask:0xf// 000000006A74: 10529CFA FF000013
	v_add_u32_e32 v2, v41, v74                                 // 000000006A7C: 68049529
	v_mul_u32_u24_dpp v41, v19, v78 quad_perm:[0,0,0,0] row_mask:0xf bank_mask:0xf// 000000006A80: 10529CFA FF000013
	v_add_u32_e32 v70, v41, v75                                // 000000006A88: 688C9729
	v_mfma_f32_16x16x32_fp8_fp8 v[128:131], a[32:33], v[96:97], 0// 000000006A8C: D3F30080 0A02C120
	v_mfma_f32_16x16x32_fp8_fp8 v[128:131], a[34:35], v[98:99], v[128:131]// 000000006A94: D3F30080 0E02C522
	buffer_load_dwordx4 a[0:3], v25, s[16:19], 0 offen         // 000000006A9C: E05C1000 80840019
	v_mfma_f32_16x16x32_fp8_fp8 v[128:131], a[36:37], v[100:101], v[128:131]// 000000006AA4: D3F30080 0E02C924
	v_mfma_f32_16x16x32_fp8_fp8 v[128:131], a[38:39], v[102:103], v[128:131]// 000000006AAC: D3F30080 0E02CD26
	buffer_load_dword v20, v1, s[24:27], 0 offen               // 000000006AB4: E0501000 80061401
	v_mfma_f32_16x16x32_fp8_fp8 v[132:135], a[40:41], v[96:97], 0// 000000006ABC: D3F30084 0A02C128
	v_mfma_f32_16x16x32_fp8_fp8 v[132:135], a[42:43], v[98:99], v[132:135]// 000000006AC4: D3F30084 0E12C52A
	buffer_load_dwordx4 a[4:7], v25, s[16:19], 0 offen offset:1024// 000000006ACC: E05C1400 80840419
	v_mfma_f32_16x16x32_fp8_fp8 v[132:135], a[44:45], v[100:101], v[132:135]// 000000006AD4: D3F30084 0E12C92C
	v_mfma_f32_16x16x32_fp8_fp8 v[132:135], a[46:47], v[102:103], v[132:135]// 000000006ADC: D3F30084 0E12CD2E
	v_mfma_f32_16x16x32_fp8_fp8 v[136:139], a[48:49], v[96:97], 0// 000000006AE4: D3F30088 0A02C130
	v_mfma_f32_16x16x32_fp8_fp8 v[136:139], a[50:51], v[98:99], v[136:139]// 000000006AEC: D3F30088 0E22C532
	buffer_load_dwordx4 a[8:11], v26, s[16:19], 0 offen        // 000000006AF4: E05C1000 8084081A
	v_mfma_f32_16x16x32_fp8_fp8 v[136:139], a[52:53], v[100:101], v[136:139]// 000000006AFC: D3F30088 0E22C934
	v_mfma_f32_16x16x32_fp8_fp8 v[136:139], a[54:55], v[102:103], v[136:139]// 000000006B04: D3F30088 0E22CD36
	v_mfma_f32_16x16x32_fp8_fp8 v[140:143], a[56:57], v[96:97], 0// 000000006B0C: D3F3008C 0A02C138
	v_mfma_f32_16x16x32_fp8_fp8 v[140:143], a[58:59], v[98:99], v[140:143]// 000000006B14: D3F3008C 0E32C53A
	buffer_load_dwordx4 a[12:15], v26, s[16:19], 0 offen offset:1024// 000000006B1C: E05C1400 80840C1A
	v_mfma_f32_16x16x32_fp8_fp8 v[140:143], a[60:61], v[100:101], v[140:143]// 000000006B24: D3F3008C 0E32C93C
	v_mfma_f32_16x16x32_fp8_fp8 v[140:143], a[62:63], v[102:103], v[140:143]// 000000006B2C: D3F3008C 0E32CD3E
	buffer_load_dword v52, v2, s[32:35], 0 offen               // 000000006B34: E0501000 80083402
	v_mov_b32_dpp v41, v53 row_shr:4 row_mask:0xf bank_mask:0xf// 000000006B3C: 7E5202FA FF011435
	v_mov_b32_dpp v42, v53 row_shl:4 row_mask:0xf bank_mask:0xf// 000000006B44: 7E5402FA FF010435
	v_cndmask_b32_e64 v248, v53, v41, s[44:45]                 // 000000006B4C: D10000F8 00B25335
	v_cndmask_b32_e64 v249, v42, v53, s[44:45]                 // 000000006B54: D10000F9 00B26B2A
	v_mov_b32_dpp v41, v248 row_shr:8 row_mask:0xf bank_mask:0xf// 000000006B5C: 7E5202FA FF0118F8
	v_mov_b32_dpp v42, v248 row_shl:8 row_mask:0xf bank_mask:0xf// 000000006B64: 7E5402FA FF0108F8
	v_mov_b32_dpp v43, v249 row_shr:8 row_mask:0xf bank_mask:0xf// 000000006B6C: 7E5602FA FF0118F9
	v_mov_b32_dpp v44, v249 row_shl:8 row_mask:0xf bank_mask:0xf// 000000006B74: 7E5802FA FF0108F9
	v_mov_b32_e32 v45, v248                                    // 000000006B7C: 7E5A03F8
	v_mov_b32_e32 v46, v249                                    // 000000006B80: 7E5C03F9
	v_cndmask_b32_e64 v248, v45, v41, s[42:43]                 // 000000006B84: D10000F8 00AA532D
	v_cndmask_b32_e64 v250, v45, v42, s[78:79]                 // 000000006B8C: D10000FA 013A552D
	v_cndmask_b32_e64 v249, v46, v43, s[42:43]                 // 000000006B94: D10000F9 00AA572E
	v_cndmask_b32_e64 v251, v46, v44, s[78:79]                 // 000000006B9C: D10000FB 013A592E
	v_mov_b32_dpp v41, v73 row_shr:4 row_mask:0xf bank_mask:0xf// 000000006BA4: 7E5202FA FF011449
	v_mov_b32_dpp v42, v73 row_shl:4 row_mask:0xf bank_mask:0xf// 000000006BAC: 7E5402FA FF010449
	v_cndmask_b32_e64 v252, v73, v41, s[44:45]                 // 000000006BB4: D10000FC 00B25349
	v_cndmask_b32_e64 v253, v42, v73, s[44:45]                 // 000000006BBC: D10000FD 00B2932A
	v_mov_b32_dpp v41, v252 row_shr:8 row_mask:0xf bank_mask:0xf// 000000006BC4: 7E5202FA FF0118FC
	v_mov_b32_dpp v42, v252 row_shl:8 row_mask:0xf bank_mask:0xf// 000000006BCC: 7E5402FA FF0108FC
	v_mov_b32_dpp v43, v253 row_shr:8 row_mask:0xf bank_mask:0xf// 000000006BD4: 7E5602FA FF0118FD
	v_mov_b32_dpp v44, v253 row_shl:8 row_mask:0xf bank_mask:0xf// 000000006BDC: 7E5802FA FF0108FD
	v_mov_b32_e32 v45, v252                                    // 000000006BE4: 7E5A03FC
	v_mov_b32_e32 v46, v253                                    // 000000006BE8: 7E5C03FD
	v_cndmask_b32_e64 v252, v45, v41, s[42:43]                 // 000000006BEC: D10000FC 00AA532D
	v_cndmask_b32_e64 v254, v45, v42, s[78:79]                 // 000000006BF4: D10000FE 013A552D
	v_cndmask_b32_e64 v253, v46, v43, s[42:43]                 // 000000006BFC: D10000FD 00AA572E
	v_cndmask_b32_e64 v255, v46, v44, s[78:79]                 // 000000006C04: D10000FF 013A592E
	buffer_load_dword v72, v70, s[36:39], 0 offen              // 000000006C0C: E0501000 80094846
	v_mul_f32_e32 v128, v54, v128                              // 000000006C14: 0B010136
	v_mul_f32_e32 v129, v54, v129                              // 000000006C18: 0B030336
	v_mul_f32_e32 v130, v54, v130                              // 000000006C1C: 0B050536
	v_mul_f32_e32 v131, v54, v131                              // 000000006C20: 0B070736
	v_mul_f32_e32 v132, v54, v132                              // 000000006C24: 0B090936
	v_mul_f32_e32 v133, v54, v133                              // 000000006C28: 0B0B0B36
	v_mul_f32_e32 v134, v54, v134                              // 000000006C2C: 0B0D0D36
	v_mul_f32_e32 v135, v54, v135                              // 000000006C30: 0B0F0F36
	v_mul_f32_e32 v136, v54, v136                              // 000000006C34: 0B111136
	v_mul_f32_e32 v137, v54, v137                              // 000000006C38: 0B131336
	v_mul_f32_e32 v138, v54, v138                              // 000000006C3C: 0B151536
	v_mul_f32_e32 v139, v54, v139                              // 000000006C40: 0B171736
	v_mul_f32_e32 v140, v54, v140                              // 000000006C44: 0B191936
	v_mul_f32_e32 v141, v54, v141                              // 000000006C48: 0B1B1B36
	v_mul_f32_e32 v142, v54, v142                              // 000000006C4C: 0B1D1D36
	v_mul_f32_e32 v143, v54, v143                              // 000000006C50: 0B1F1F36
	buffer_load_dwordx4 a[16:19], v27, s[16:19], 0 offen       // 000000006C54: E05C1000 8084101B
	v_mul_f32_dpp v128, v248, v128 quad_perm:[0,0,0,0] row_mask:0xf bank_mask:0xf// 000000006C5C: 0B0100FA FF0000F8
	v_mul_f32_dpp v129, v248, v129 quad_perm:[1,1,1,1] row_mask:0xf bank_mask:0xf// 000000006C64: 0B0302FA FF0055F8
	v_mul_f32_dpp v130, v248, v130 quad_perm:[2,2,2,2] row_mask:0xf bank_mask:0xf// 000000006C6C: 0B0504FA FF00AAF8
	v_mul_f32_dpp v131, v248, v131 quad_perm:[3,3,3,3] row_mask:0xf bank_mask:0xf// 000000006C74: 0B0706FA FF00FFF8
	v_mul_f32_dpp v132, v249, v132 quad_perm:[0,0,0,0] row_mask:0xf bank_mask:0xf// 000000006C7C: 0B0908FA FF0000F9
	v_mul_f32_dpp v133, v249, v133 quad_perm:[1,1,1,1] row_mask:0xf bank_mask:0xf// 000000006C84: 0B0B0AFA FF0055F9
	v_mul_f32_dpp v134, v249, v134 quad_perm:[2,2,2,2] row_mask:0xf bank_mask:0xf// 000000006C8C: 0B0D0CFA FF00AAF9
	v_mul_f32_dpp v135, v249, v135 quad_perm:[3,3,3,3] row_mask:0xf bank_mask:0xf// 000000006C94: 0B0F0EFA FF00FFF9
	v_mul_f32_dpp v136, v250, v136 quad_perm:[0,0,0,0] row_mask:0xf bank_mask:0xf// 000000006C9C: 0B1110FA FF0000FA
	v_mul_f32_dpp v137, v250, v137 quad_perm:[1,1,1,1] row_mask:0xf bank_mask:0xf// 000000006CA4: 0B1312FA FF0055FA
	v_mul_f32_dpp v138, v250, v138 quad_perm:[2,2,2,2] row_mask:0xf bank_mask:0xf// 000000006CAC: 0B1514FA FF00AAFA
	v_mul_f32_dpp v139, v250, v139 quad_perm:[3,3,3,3] row_mask:0xf bank_mask:0xf// 000000006CB4: 0B1716FA FF00FFFA
	v_mul_f32_dpp v140, v251, v140 quad_perm:[0,0,0,0] row_mask:0xf bank_mask:0xf// 000000006CBC: 0B1918FA FF0000FB
	v_mul_f32_dpp v141, v251, v141 quad_perm:[1,1,1,1] row_mask:0xf bank_mask:0xf// 000000006CC4: 0B1B1AFA FF0055FB
	v_mul_f32_dpp v142, v251, v142 quad_perm:[2,2,2,2] row_mask:0xf bank_mask:0xf// 000000006CCC: 0B1D1CFA FF00AAFB
	v_mul_f32_dpp v143, v251, v143 quad_perm:[3,3,3,3] row_mask:0xf bank_mask:0xf// 000000006CD4: 0B1F1EFA FF00FFFB
	buffer_load_dwordx4 a[20:23], v27, s[16:19], 0 offen offset:1024// 000000006CDC: E05C1400 8084141B
	s_cmp_le_i32 s90, s89                                      // 000000006CE4: BF05595A
	s_cbranch_scc1 label_132E                                  // 000000006CE8: BF850073
	v_mov_b32_e32 v69, 0xff800000                              // 000000006CEC: 7E8A02FF FF800000
	s_mov_b32 s60, s90                                         // 000000006CF4: BEBC005A
	s_add_u32 s61, s89, 0xff                                   // 000000006CF8: 803DFF59 000000FF
	v_mov_b32_e32 v41, s61                                     // 000000006D00: 7E52023D
	v_lshrrev_b32_e32 v240, 4, v0                              // 000000006D04: 21E00084
	v_mul_i32_i24_e32 v240, 4, v240                            // 000000006D08: 0DE1E084
	v_add_u32_e32 v240, s60, v240                              // 000000006D0C: 69E1E03C
	v_and_b32_e32 v42, 15, v0                                  // 000000006D10: 2654008F
	v_lshrrev_b32_e32 v42, 3, v42                              // 000000006D14: 20545483
	s_mov_b32 s61, 0                                           // 000000006D18: BEBD0080
	s_mul_i32 s60, 16, s7                                      // 000000006D1C: 923C0790
	v_add_u32_e32 v42, s61, v42                                // 000000006D20: 6854543D
	v_sub_u32_e32 v240, v240, v42                              // 000000006D24: 6BE055F0
	v_add_u32_e32 v240, s60, v240                              // 000000006D28: 69E1E03C
	v_add_u32_e32 v241, 1, v240                                // 000000006D2C: 69E3E081
	v_add_u32_e32 v242, 2, v240                                // 000000006D30: 69E5E082
	v_add_u32_e32 v243, 3, v240                                // 000000006D34: 69E7E083
	v_cmp_le_u32_e64 s[40:41], v240, v41                       // 000000006D38: D0CB0028 000253F0
	v_add_u32_e32 v240, 64, v240                               // 000000006D40: 69E1E0C0
	s_nop 0                                                    // 000000006D44: BF800000
	v_cndmask_b32_e64 v128, v69, v128, s[40:41]                // 000000006D48: D1000080 00A30145
	v_cmp_le_u32_e64 s[40:41], v241, v41                       // 000000006D50: D0CB0028 000253F1
	v_add_u32_e32 v241, 64, v241                               // 000000006D58: 69E3E2C0
	s_nop 0                                                    // 000000006D5C: BF800000
	v_cndmask_b32_e64 v129, v69, v129, s[40:41]                // 000000006D60: D1000081 00A30345
	v_cmp_le_u32_e64 s[40:41], v242, v41                       // 000000006D68: D0CB0028 000253F2
	v_add_u32_e32 v242, 64, v242                               // 000000006D70: 69E5E4C0
	s_nop 0                                                    // 000000006D74: BF800000
	v_cndmask_b32_e64 v130, v69, v130, s[40:41]                // 000000006D78: D1000082 00A30545
	v_cmp_le_u32_e64 s[40:41], v243, v41                       // 000000006D80: D0CB0028 000253F3
	v_add_u32_e32 v243, 64, v243                               // 000000006D88: 69E7E6C0
	s_nop 0                                                    // 000000006D8C: BF800000
	v_cndmask_b32_e64 v131, v69, v131, s[40:41]                // 000000006D90: D1000083 00A30745
	v_cmp_le_u32_e64 s[40:41], v240, v41                       // 000000006D98: D0CB0028 000253F0
	v_add_u32_e32 v240, 64, v240                               // 000000006DA0: 69E1E0C0
	s_nop 0                                                    // 000000006DA4: BF800000
	v_cndmask_b32_e64 v132, v69, v132, s[40:41]                // 000000006DA8: D1000084 00A30945
	v_cmp_le_u32_e64 s[40:41], v241, v41                       // 000000006DB0: D0CB0028 000253F1
	v_add_u32_e32 v241, 64, v241                               // 000000006DB8: 69E3E2C0
	s_nop 0                                                    // 000000006DBC: BF800000
	v_cndmask_b32_e64 v133, v69, v133, s[40:41]                // 000000006DC0: D1000085 00A30B45
	v_cmp_le_u32_e64 s[40:41], v242, v41                       // 000000006DC8: D0CB0028 000253F2
	v_add_u32_e32 v242, 64, v242                               // 000000006DD0: 69E5E4C0
	s_nop 0                                                    // 000000006DD4: BF800000
	v_cndmask_b32_e64 v134, v69, v134, s[40:41]                // 000000006DD8: D1000086 00A30D45
	v_cmp_le_u32_e64 s[40:41], v243, v41                       // 000000006DE0: D0CB0028 000253F3
	v_add_u32_e32 v243, 64, v243                               // 000000006DE8: 69E7E6C0
	s_nop 0                                                    // 000000006DEC: BF800000
	v_cndmask_b32_e64 v135, v69, v135, s[40:41]                // 000000006DF0: D1000087 00A30F45
	v_cmp_le_u32_e64 s[40:41], v240, v41                       // 000000006DF8: D0CB0028 000253F0
	v_add_u32_e32 v240, 64, v240                               // 000000006E00: 69E1E0C0
	s_nop 0                                                    // 000000006E04: BF800000
	v_cndmask_b32_e64 v136, v69, v136, s[40:41]                // 000000006E08: D1000088 00A31145
	v_cmp_le_u32_e64 s[40:41], v241, v41                       // 000000006E10: D0CB0028 000253F1
	v_add_u32_e32 v241, 64, v241                               // 000000006E18: 69E3E2C0
	s_nop 0                                                    // 000000006E1C: BF800000
	v_cndmask_b32_e64 v137, v69, v137, s[40:41]                // 000000006E20: D1000089 00A31345
	v_cmp_le_u32_e64 s[40:41], v242, v41                       // 000000006E28: D0CB0028 000253F2
	v_add_u32_e32 v242, 64, v242                               // 000000006E30: 69E5E4C0
	s_nop 0                                                    // 000000006E34: BF800000
	v_cndmask_b32_e64 v138, v69, v138, s[40:41]                // 000000006E38: D100008A 00A31545
	v_cmp_le_u32_e64 s[40:41], v243, v41                       // 000000006E40: D0CB0028 000253F3
	v_add_u32_e32 v243, 64, v243                               // 000000006E48: 69E7E6C0
	s_nop 0                                                    // 000000006E4C: BF800000
	v_cndmask_b32_e64 v139, v69, v139, s[40:41]                // 000000006E50: D100008B 00A31745
	v_cmp_le_u32_e64 s[40:41], v240, v41                       // 000000006E58: D0CB0028 000253F0
	v_add_u32_e32 v240, 64, v240                               // 000000006E60: 69E1E0C0
	s_nop 0                                                    // 000000006E64: BF800000
	v_cndmask_b32_e64 v140, v69, v140, s[40:41]                // 000000006E68: D100008C 00A31945
	v_cmp_le_u32_e64 s[40:41], v241, v41                       // 000000006E70: D0CB0028 000253F1
	v_add_u32_e32 v241, 64, v241                               // 000000006E78: 69E3E2C0
	s_nop 0                                                    // 000000006E7C: BF800000
	v_cndmask_b32_e64 v141, v69, v141, s[40:41]                // 000000006E80: D100008D 00A31B45
	v_cmp_le_u32_e64 s[40:41], v242, v41                       // 000000006E88: D0CB0028 000253F2
	v_add_u32_e32 v242, 64, v242                               // 000000006E90: 69E5E4C0
	s_nop 0                                                    // 000000006E94: BF800000
	v_cndmask_b32_e64 v142, v69, v142, s[40:41]                // 000000006E98: D100008E 00A31D45
	v_cmp_le_u32_e64 s[40:41], v243, v41                       // 000000006EA0: D0CB0028 000253F3
	v_add_u32_e32 v243, 64, v243                               // 000000006EA8: 69E7E6C0
	s_nop 0                                                    // 000000006EAC: BF800000
	v_cndmask_b32_e64 v143, v69, v143, s[40:41]                // 000000006EB0: D100008F 00A31F45

0000000000006eb8 <label_132E>:
	s_add_u32 s90, s91, s90                                    // 000000006EB8: 805A5A5B
	v_mov_b32_e32 v62, v128                                    // 000000006EBC: 7E7C0380
	v_max3_f32 v62, v128, v129, v62                            // 000000006EC0: D1D3003E 04FB0380
	v_max3_f32 v62, v130, v131, v62                            // 000000006EC8: D1D3003E 04FB0782
	v_max3_f32 v62, v132, v133, v62                            // 000000006ED0: D1D3003E 04FB0B84
	v_max3_f32 v62, v134, v135, v62                            // 000000006ED8: D1D3003E 04FB0F86
	v_max3_f32 v62, v136, v137, v62                            // 000000006EE0: D1D3003E 04FB1388
	v_max3_f32 v62, v138, v139, v62                            // 000000006EE8: D1D3003E 04FB178A
	v_max3_f32 v62, v140, v141, v62                            // 000000006EF0: D1D3003E 04FB1B8C
	v_max3_f32 v62, v142, v143, v62                            // 000000006EF8: D1D3003E 04FB1F8E
	ds_write_b32 v11, v62 offset:16896                         // 000000006F00: D81A4200 00003E0B
	buffer_load_dwordx4 a[24:27], v28, s[16:19], 0 offen       // 000000006F08: E05C1000 8084181C
	v_mul_u32_u24_dpp v41, v19, v68 row_newbcast:1 row_mask:0xf bank_mask:0xf// 000000006F10: 105288FA FF015113
	v_mul_u32_u24_dpp v42, v19, v68 row_newbcast:5 row_mask:0xf bank_mask:0xf// 000000006F18: 105488FA FF015513
	v_mul_u32_u24_dpp v43, v19, v68 row_newbcast:9 row_mask:0xf bank_mask:0xf// 000000006F20: 105688FA FF015913
	v_mul_u32_u24_dpp v44, v19, v68 row_newbcast:13 row_mask:0xf bank_mask:0xf// 000000006F28: 105888FA FF015D13
	v_add_u32_e32 v33, v41, v7                                 // 000000006F30: 68420F29
	v_add_u32_e32 v34, v42, v7                                 // 000000006F34: 68440F2A
	v_add_u32_e32 v35, v43, v7                                 // 000000006F38: 68460F2B
	v_add_u32_e32 v36, v44, v7                                 // 000000006F3C: 68480F2C
	v_mul_f32_e32 v224, v63, v224                              // 000000006F40: 0BC1C13F
	v_mul_f32_e32 v225, v63, v225                              // 000000006F44: 0BC3C33F
	v_mul_f32_e32 v226, v63, v226                              // 000000006F48: 0BC5C53F
	v_mul_f32_e32 v227, v63, v227                              // 000000006F4C: 0BC7C73F
	v_mul_f32_e32 v228, v63, v228                              // 000000006F50: 0BC9C93F
	v_mul_f32_e32 v229, v63, v229                              // 000000006F54: 0BCBCB3F
	v_mul_f32_e32 v230, v63, v230                              // 000000006F58: 0BCDCD3F
	v_mul_f32_e32 v231, v63, v231                              // 000000006F5C: 0BCFCF3F
	s_waitcnt lgkmcnt(0)                                       // 000000006F60: BF8CC07F
	s_barrier                                                  // 000000006F64: BF8A0000
	ds_read_b32 v80, v10 offset:16896                          // 000000006F68: D86C4200 5000000A
	ds_read_b32 v81, v10 offset:16960                          // 000000006F70: D86C4240 5100000A
	ds_read_b32 v82, v10 offset:17024                          // 000000006F78: D86C4280 5200000A
	ds_read_b32 v83, v10 offset:17088                          // 000000006F80: D86C42C0 5300000A
	ds_read_b32 v84, v10 offset:17152                          // 000000006F88: D86C4300 5400000A
	ds_read_b32 v85, v10 offset:17216                          // 000000006F90: D86C4340 5500000A
	ds_read_b32 v86, v10 offset:17280                          // 000000006F98: D86C4380 5600000A
	ds_read_b32 v87, v10 offset:17344                          // 000000006FA0: D86C43C0 5700000A
	ds_read_b32 v88, v10 offset:17408                          // 000000006FA8: D86C4400 5800000A
	ds_read_b32 v89, v10 offset:17472                          // 000000006FB0: D86C4440 5900000A
	ds_read_b32 v90, v10 offset:17536                          // 000000006FB8: D86C4480 5A00000A
	ds_read_b32 v91, v10 offset:17600                          // 000000006FC0: D86C44C0 5B00000A
	ds_read_b32 v92, v10 offset:17664                          // 000000006FC8: D86C4500 5C00000A
	ds_read_b32 v93, v10 offset:17728                          // 000000006FD0: D86C4540 5D00000A
	ds_read_b32 v94, v10 offset:17792                          // 000000006FD8: D86C4580 5E00000A
	ds_read_b32 v95, v10 offset:17856                          // 000000006FE0: D86C45C0 5F00000A
	buffer_load_dwordx4 a[28:31], v28, s[16:19], 0 offen offset:1024// 000000006FE8: E05C1400 80841C1C
	v_mul_f32_e32 v192, v58, v192                              // 000000006FF0: 0B81813A
	v_mul_f32_e32 v193, v58, v193                              // 000000006FF4: 0B83833A
	v_mul_f32_e32 v194, v58, v194                              // 000000006FF8: 0B85853A
	v_mul_f32_e32 v195, v58, v195                              // 000000006FFC: 0B87873A
	v_mul_f32_e32 v196, v58, v196                              // 000000007000: 0B89893A
	v_mul_f32_e32 v197, v58, v197                              // 000000007004: 0B8B8B3A
	v_mul_f32_e32 v198, v58, v198                              // 000000007008: 0B8D8D3A
	v_mul_f32_e32 v199, v58, v199                              // 00000000700C: 0B8F8F3A
	s_waitcnt lgkmcnt(0)                                       // 000000007010: BF8CC07F
	v_max3_f32 v62, v80, v81, v62                              // 000000007014: D1D3003E 04FAA350
	v_max3_f32 v62, v82, v83, v62                              // 00000000701C: D1D3003E 04FAA752
	v_max3_f32 v62, v84, v85, v62                              // 000000007024: D1D3003E 04FAAB54
	v_max3_f32 v62, v86, v87, v62                              // 00000000702C: D1D3003E 04FAAF56
	v_max3_f32 v62, v88, v89, v62                              // 000000007034: D1D3003E 04FAB358
	v_max3_f32 v62, v90, v91, v62                              // 00000000703C: D1D3003E 04FAB75A
	v_max3_f32 v62, v92, v93, v62                              // 000000007044: D1D3003E 04FABB5C
	v_max3_f32 v62, v94, v95, v62                              // 00000000704C: D1D3003E 04FABF5E
	buffer_load_dwordx4 a[64:67], v33, s[20:23], 0 offen       // 000000007054: E05C1000 80854021
	v_mov_b32_e32 v41, 0xff800000                              // 00000000705C: 7E5202FF FF800000
	v_cmp_eq_u32_e64 s[40:41], v41, v14                        // 000000007064: D0CA0028 00021D29
	s_nop 1                                                    // 00000000706C: BF800001
	v_max_f32_e32 v18, v62, v14                                // 000000007070: 16241D3E
	v_mul_f32_e32 v67, s64, v18                                // 000000007074: 0A862440
	v_fma_f32 v128, v128, s64, -v67                            // 000000007078: D1CB0080 850C8180
	v_fma_f32 v129, v129, s64, -v67                            // 000000007080: D1CB0081 850C8181
	v_fma_f32 v130, v130, s64, -v67                            // 000000007088: D1CB0082 850C8182
	v_fma_f32 v131, v131, s64, -v67                            // 000000007090: D1CB0083 850C8183
	v_fma_f32 v132, v132, s64, -v67                            // 000000007098: D1CB0084 850C8184
	v_fma_f32 v133, v133, s64, -v67                            // 0000000070A0: D1CB0085 850C8185
	v_fma_f32 v134, v134, s64, -v67                            // 0000000070A8: D1CB0086 850C8186
	v_fma_f32 v135, v135, s64, -v67                            // 0000000070B0: D1CB0087 850C8187
	v_fma_f32 v136, v136, s64, -v67                            // 0000000070B8: D1CB0088 850C8188
	v_fma_f32 v137, v137, s64, -v67                            // 0000000070C0: D1CB0089 850C8189
	v_fma_f32 v138, v138, s64, -v67                            // 0000000070C8: D1CB008A 850C818A
	v_fma_f32 v139, v139, s64, -v67                            // 0000000070D0: D1CB008B 850C818B
	v_fma_f32 v140, v140, s64, -v67                            // 0000000070D8: D1CB008C 850C818C
	v_fma_f32 v141, v141, s64, -v67                            // 0000000070E0: D1CB008D 850C818D
	v_fma_f32 v142, v142, s64, -v67                            // 0000000070E8: D1CB008E 850C818E
	v_fma_f32 v143, v143, s64, -v67                            // 0000000070F0: D1CB008F 850C818F
	buffer_load_dwordx4 a[68:71], v34, s[20:23], 0 offen       // 0000000070F8: E05C1000 80854422
	v_exp_f32_e32 v128, v128                                   // 000000007100: 7F004180
	v_exp_f32_e32 v129, v129                                   // 000000007104: 7F024181
	v_exp_f32_e32 v130, v130                                   // 000000007108: 7F044182
	v_exp_f32_e32 v131, v131                                   // 00000000710C: 7F064183
	v_exp_f32_e32 v132, v132                                   // 000000007110: 7F084184
	v_exp_f32_e32 v133, v133                                   // 000000007114: 7F0A4185
	v_exp_f32_e32 v134, v134                                   // 000000007118: 7F0C4186
	v_exp_f32_e32 v135, v135                                   // 00000000711C: 7F0E4187
	v_exp_f32_e32 v136, v136                                   // 000000007120: 7F104188
	v_exp_f32_e32 v137, v137                                   // 000000007124: 7F124189
	v_exp_f32_e32 v138, v138                                   // 000000007128: 7F14418A
	v_exp_f32_e32 v139, v139                                   // 00000000712C: 7F16418B
	v_exp_f32_e32 v140, v140                                   // 000000007130: 7F18418C
	v_exp_f32_e32 v141, v141                                   // 000000007134: 7F1A418D
	v_exp_f32_e32 v142, v142                                   // 000000007138: 7F1C418E
	v_exp_f32_e32 v143, v143                                   // 00000000713C: 7F1E418F
	buffer_load_dwordx4 a[72:75], v35, s[20:23], 0 offen       // 000000007140: E05C1000 80854823
	v_mul_f32_dpp v240, v252, v128 quad_perm:[0,0,0,0] row_mask:0xf bank_mask:0xf// 000000007148: 0BE100FA FF0000FC
	v_mul_f32_dpp v241, v252, v129 quad_perm:[1,1,1,1] row_mask:0xf bank_mask:0xf// 000000007150: 0BE302FA FF0055FC
	v_mul_f32_dpp v242, v252, v130 quad_perm:[2,2,2,2] row_mask:0xf bank_mask:0xf// 000000007158: 0BE504FA FF00AAFC
	v_mul_f32_dpp v243, v252, v131 quad_perm:[3,3,3,3] row_mask:0xf bank_mask:0xf// 000000007160: 0BE706FA FF00FFFC
	v_mul_f32_dpp v244, v253, v132 quad_perm:[0,0,0,0] row_mask:0xf bank_mask:0xf// 000000007168: 0BE908FA FF0000FD
	v_mul_f32_dpp v245, v253, v133 quad_perm:[1,1,1,1] row_mask:0xf bank_mask:0xf// 000000007170: 0BEB0AFA FF0055FD
	v_mul_f32_dpp v246, v253, v134 quad_perm:[2,2,2,2] row_mask:0xf bank_mask:0xf// 000000007178: 0BED0CFA FF00AAFD
	v_mul_f32_dpp v247, v253, v135 quad_perm:[3,3,3,3] row_mask:0xf bank_mask:0xf// 000000007180: 0BEF0EFA FF00FFFD
	v_mul_f32_dpp v248, v254, v136 quad_perm:[0,0,0,0] row_mask:0xf bank_mask:0xf// 000000007188: 0BF110FA FF0000FE
	v_mul_f32_dpp v249, v254, v137 quad_perm:[1,1,1,1] row_mask:0xf bank_mask:0xf// 000000007190: 0BF312FA FF0055FE
	v_mul_f32_dpp v250, v254, v138 quad_perm:[2,2,2,2] row_mask:0xf bank_mask:0xf// 000000007198: 0BF514FA FF00AAFE
	v_mul_f32_dpp v251, v254, v139 quad_perm:[3,3,3,3] row_mask:0xf bank_mask:0xf// 0000000071A0: 0BF716FA FF00FFFE
	v_mul_f32_dpp v252, v255, v140 quad_perm:[0,0,0,0] row_mask:0xf bank_mask:0xf// 0000000071A8: 0BF918FA FF0000FF
	v_mul_f32_dpp v253, v255, v141 quad_perm:[1,1,1,1] row_mask:0xf bank_mask:0xf// 0000000071B0: 0BFB1AFA FF0055FF
	v_mul_f32_dpp v254, v255, v142 quad_perm:[2,2,2,2] row_mask:0xf bank_mask:0xf// 0000000071B8: 0BFD1CFA FF00AAFF
	v_mul_f32_dpp v255, v255, v143 quad_perm:[3,3,3,3] row_mask:0xf bank_mask:0xf// 0000000071C0: 0BFF1EFA FF00FFFF
	v_mov_b32_e32 v62, 0x358637bd                              // 0000000071C8: 7E7C02FF 358637BD
	v_max3_f32 v62, |v240|, |v241|, v62                        // 0000000071D0: D1D3033E 04FBE3F0
	v_max3_f32 v62, |v242|, |v243|, v62                        // 0000000071D8: D1D3033E 04FBE7F2
	v_max3_f32 v62, |v244|, |v245|, v62                        // 0000000071E0: D1D3033E 04FBEBF4
	v_max3_f32 v62, |v246|, |v247|, v62                        // 0000000071E8: D1D3033E 04FBEFF6
	v_max3_f32 v62, |v248|, |v249|, v62                        // 0000000071F0: D1D3033E 04FBF3F8
	v_max3_f32 v62, |v250|, |v251|, v62                        // 0000000071F8: D1D3033E 04FBF7FA
	v_max3_f32 v62, |v252|, |v253|, v62                        // 000000007200: D1D3033E 04FBFBFC
	v_max3_f32 v62, |v254|, |v255|, v62                        // 000000007208: D1D3033E 04FBFFFE
	buffer_load_dwordx4 a[76:79], v36, s[20:23], 0 offen       // 000000007210: E05C1000 80854C24
	ds_write_b32 v11, v62 offset:20992                         // 000000007218: D81A5200 00003E0B
	v_sub_f32_e32 v63, v14, v18                                // 000000007220: 047E250E
	v_cndmask_b32_e64 v63, v63, 0, s[40:41]                    // 000000007224: D100003F 00A1013F
	v_mov_b32_e32 v14, v18                                     // 00000000722C: 7E1C0312
	v_mul_f32_e32 v63, s64, v63                                // 000000007230: 0A7E7E40
	v_exp_f32_e32 v63, v63                                     // 000000007234: 7E7E413F
	s_waitcnt lgkmcnt(0)                                       // 000000007238: BF8CC07F
	s_barrier                                                  // 00000000723C: BF8A0000
	ds_read_b32 v80, v10 offset:20992                          // 000000007240: D86C5200 5000000A
	ds_read_b32 v81, v10 offset:21056                          // 000000007248: D86C5240 5100000A
	ds_read_b32 v82, v10 offset:21120                          // 000000007250: D86C5280 5200000A
	ds_read_b32 v83, v10 offset:21184                          // 000000007258: D86C52C0 5300000A
	ds_read_b32 v84, v10 offset:21248                          // 000000007260: D86C5300 5400000A
	ds_read_b32 v85, v10 offset:21312                          // 000000007268: D86C5340 5500000A
	ds_read_b32 v86, v10 offset:21376                          // 000000007270: D86C5380 5600000A
	ds_read_b32 v87, v10 offset:21440                          // 000000007278: D86C53C0 5700000A
	ds_read_b32 v88, v10 offset:21504                          // 000000007280: D86C5400 5800000A
	ds_read_b32 v89, v10 offset:21568                          // 000000007288: D86C5440 5900000A
	ds_read_b32 v90, v10 offset:21632                          // 000000007290: D86C5480 5A00000A
	ds_read_b32 v91, v10 offset:21696                          // 000000007298: D86C54C0 5B00000A
	ds_read_b32 v92, v10 offset:21760                          // 0000000072A0: D86C5500 5C00000A
	ds_read_b32 v93, v10 offset:21824                          // 0000000072A8: D86C5540 5D00000A
	ds_read_b32 v94, v10 offset:21888                          // 0000000072B0: D86C5580 5E00000A
	ds_read_b32 v95, v10 offset:21952                          // 0000000072B8: D86C55C0 5F00000A
	v_mul_f32_e32 v47, v63, v47                                // 0000000072C0: 0A5E5F3F
	v_mov_b32_e32 v18, v128                                    // 0000000072C4: 7E240380
	v_add_f32_e32 v18, v129, v18                               // 0000000072C8: 02242581
	v_add_f32_e32 v18, v130, v18                               // 0000000072CC: 02242582
	v_add_f32_e32 v18, v131, v18                               // 0000000072D0: 02242583
	v_add_f32_e32 v18, v132, v18                               // 0000000072D4: 02242584
	v_add_f32_e32 v18, v133, v18                               // 0000000072D8: 02242585
	v_add_f32_e32 v18, v134, v18                               // 0000000072DC: 02242586
	v_add_f32_e32 v18, v135, v18                               // 0000000072E0: 02242587
	v_add_f32_e32 v18, v136, v18                               // 0000000072E4: 02242588
	v_add_f32_e32 v18, v137, v18                               // 0000000072E8: 02242589
	v_add_f32_e32 v18, v138, v18                               // 0000000072EC: 0224258A
	v_add_f32_e32 v18, v139, v18                               // 0000000072F0: 0224258B
	v_add_f32_e32 v18, v140, v18                               // 0000000072F4: 0224258C
	v_add_f32_e32 v18, v141, v18                               // 0000000072F8: 0224258D
	v_add_f32_e32 v18, v142, v18                               // 0000000072FC: 0224258E
	v_add_f32_e32 v18, v143, v18                               // 000000007300: 0224258F
	v_add_f32_e32 v47, v18, v47                                // 000000007304: 025E5F12
	s_waitcnt lgkmcnt(0)                                       // 000000007308: BF8CC07F
	v_max3_f32 v62, |v80|, |v81|, v62                          // 00000000730C: D1D3033E 04FAA350
	v_max3_f32 v62, |v82|, |v83|, v62                          // 000000007314: D1D3033E 04FAA752
	v_max3_f32 v62, |v84|, |v85|, v62                          // 00000000731C: D1D3033E 04FAAB54
	v_max3_f32 v62, |v86|, |v87|, v62                          // 000000007324: D1D3033E 04FAAF56
	v_max3_f32 v62, |v88|, |v89|, v62                          // 00000000732C: D1D3033E 04FAB358
	v_max3_f32 v62, |v90|, |v91|, v62                          // 000000007334: D1D3033E 04FAB75A
	v_max3_f32 v62, |v92|, |v93|, v62                          // 00000000733C: D1D3033E 04FABB5C
	v_max3_f32 v62, |v94|, |v95|, v62                          // 000000007344: D1D3033E 04FABF5E
	s_nop 2                                                    // 00000000734C: BF800002
	v_rcp_f32_e32 v62, v62                                     // 000000007350: 7E7C453E
	s_nop 1                                                    // 000000007354: BF800001
	v_mul_f32_e32 v62, 0x43e00000, v62                         // 000000007358: 0A7C7CFF 43E00000
	v_mul_f32_e32 v128, v62, v240                              // 000000007360: 0B01E13E
	v_mul_f32_e32 v129, v62, v241                              // 000000007364: 0B03E33E
	v_mul_f32_e32 v130, v62, v242                              // 000000007368: 0B05E53E
	v_mul_f32_e32 v131, v62, v243                              // 00000000736C: 0B07E73E
	v_mul_f32_e32 v132, v62, v244                              // 000000007370: 0B09E93E
	v_mul_f32_e32 v133, v62, v245                              // 000000007374: 0B0BEB3E
	v_mul_f32_e32 v134, v62, v246                              // 000000007378: 0B0DED3E
	v_mul_f32_e32 v135, v62, v247                              // 00000000737C: 0B0FEF3E
	v_mul_f32_e32 v136, v62, v248                              // 000000007380: 0B11F13E
	v_mul_f32_e32 v137, v62, v249                              // 000000007384: 0B13F33E
	v_mul_f32_e32 v138, v62, v250                              // 000000007388: 0B15F53E
	v_mul_f32_e32 v139, v62, v251                              // 00000000738C: 0B17F73E
	v_mul_f32_e32 v140, v62, v252                              // 000000007390: 0B19F93E
	v_mul_f32_e32 v141, v62, v253                              // 000000007394: 0B1BFB3E
	v_mul_f32_e32 v142, v62, v254                              // 000000007398: 0B1DFD3E
	v_mul_f32_e32 v143, v62, v255                              // 00000000739C: 0B1FFF3E
	v_cvt_pk_fp8_f32 v128, v128, v129                          // 0000000073A0: D2A20080 00030380
	v_cvt_pk_fp8_f32 v128, v130, v131 op_sel:[0,0,1]           // 0000000073A8: D2A24080 00030782
	v_cvt_pk_fp8_f32 v129, v132, v133                          // 0000000073B0: D2A20081 00030B84
	v_cvt_pk_fp8_f32 v129, v134, v135 op_sel:[0,0,1]           // 0000000073B8: D2A24081 00030F86
	v_cvt_pk_fp8_f32 v130, v136, v137                          // 0000000073C0: D2A20082 00031388
	v_cvt_pk_fp8_f32 v130, v138, v139 op_sel:[0,0,1]           // 0000000073C8: D2A24082 0003178A
	v_cvt_pk_fp8_f32 v131, v140, v141                          // 0000000073D0: D2A20083 00031B8C
	v_cvt_pk_fp8_f32 v131, v142, v143 op_sel:[0,0,1]           // 0000000073D8: D2A24083 00031F8E
	ds_write_b32 v13, v128 offset:25088                        // 0000000073E0: D81A6200 0000800D
	ds_write_b32 v13, v129 offset:26112                        // 0000000073E8: D81A6600 0000810D
	ds_write_b32 v13, v130 offset:27136                        // 0000000073F0: D81A6A00 0000820D
	ds_write_b32 v13, v131 offset:28160                        // 0000000073F8: D81A6E00 0000830D
	v_add_f32_e32 v224, v224, v192                             // 000000007400: 03C181E0
	v_add_f32_e32 v225, v225, v193                             // 000000007404: 03C383E1
	v_add_f32_e32 v226, v226, v194                             // 000000007408: 03C585E2
	v_add_f32_e32 v227, v227, v195                             // 00000000740C: 03C787E3
	v_add_f32_e32 v228, v228, v196                             // 000000007410: 03C989E4
	v_add_f32_e32 v229, v229, v197                             // 000000007414: 03CB8BE5
	v_add_f32_e32 v230, v230, v198                             // 000000007418: 03CD8DE6
	v_add_f32_e32 v231, v231, v199                             // 00000000741C: 03CF8FE7
	v_rcp_f32_e32 v58, v62                                     // 000000007420: 7E74453E
	s_waitcnt lgkmcnt(0)                                       // 000000007424: BF8CC07F
	s_barrier                                                  // 000000007428: BF8A0000
	ds_read_b64 v[128:129], v12 offset:25088                   // 00000000742C: D8EC6200 8000000C
	ds_read_b64 v[130:131], v12 offset:25216                   // 000000007434: D8EC6280 8200000C
	ds_read_b64 v[132:133], v12 offset:26112                   // 00000000743C: D8EC6600 8400000C
	ds_read_b64 v[134:135], v12 offset:26240                   // 000000007444: D8EC6680 8600000C
	ds_read_b64 v[136:137], v12 offset:27136                   // 00000000744C: D8EC6A00 8800000C
	ds_read_b64 v[138:139], v12 offset:27264                   // 000000007454: D8EC6A80 8A00000C
	ds_read_b64 v[140:141], v12 offset:28160                   // 00000000745C: D8EC6E00 8C00000C
	ds_read_b64 v[142:143], v12 offset:28288                   // 000000007464: D8EC6E80 8E00000C
	s_waitcnt vmcnt(15)                                        // 00000000746C: BF8C0F7F
	s_waitcnt lgkmcnt(7)                                       // 000000007470: BF8CC77F
	v_mfma_f32_16x16x32_fp8_fp8 v[192:195], a[96:97], v[128:129], 0// 000000007474: D3F300C0 0A030160
	s_waitcnt lgkmcnt(6)                                       // 00000000747C: BF8CC67F
	v_mfma_f32_16x16x32_fp8_fp8 v[192:195], a[98:99], v[130:131], v[192:195]// 000000007480: D3F300C0 0F030562
	buffer_load_dwordx4 a[80:83], v33, s[20:23], 0 offen offset:1024// 000000007488: E05C1400 80855021
	s_waitcnt lgkmcnt(5)                                       // 000000007490: BF8CC57F
	v_mfma_f32_16x16x32_fp8_fp8 v[192:195], a[100:101], v[132:133], v[192:195]// 000000007494: D3F300C0 0F030964
	s_waitcnt lgkmcnt(4)                                       // 00000000749C: BF8CC47F
	v_mfma_f32_16x16x32_fp8_fp8 v[192:195], a[102:103], v[134:135], v[192:195]// 0000000074A0: D3F300C0 0F030D66
	s_waitcnt lgkmcnt(3)                                       // 0000000074A8: BF8CC37F
	v_mfma_f32_16x16x32_fp8_fp8 v[192:195], a[104:105], v[136:137], v[192:195]// 0000000074AC: D3F300C0 0F031168
	s_waitcnt lgkmcnt(2)                                       // 0000000074B4: BF8CC27F
	v_mfma_f32_16x16x32_fp8_fp8 v[192:195], a[106:107], v[138:139], v[192:195]// 0000000074B8: D3F300C0 0F03156A
	buffer_load_dwordx4 a[84:87], v34, s[20:23], 0 offen offset:1024// 0000000074C0: E05C1400 80855422
	s_waitcnt lgkmcnt(1)                                       // 0000000074C8: BF8CC17F
	v_mfma_f32_16x16x32_fp8_fp8 v[192:195], a[108:109], v[140:141], v[192:195]// 0000000074CC: D3F300C0 0F03196C
	s_waitcnt lgkmcnt(0)                                       // 0000000074D4: BF8CC07F
	v_mfma_f32_16x16x32_fp8_fp8 v[192:195], a[110:111], v[142:143], v[192:195]// 0000000074D8: D3F300C0 0F031D6E
	v_mfma_f32_16x16x32_fp8_fp8 v[196:199], a[112:113], v[128:129], 0// 0000000074E0: D3F300C4 0A030170
	v_mfma_f32_16x16x32_fp8_fp8 v[196:199], a[114:115], v[130:131], v[196:199]// 0000000074E8: D3F300C4 0F130572
	buffer_load_dwordx4 a[88:91], v35, s[20:23], 0 offen offset:1024// 0000000074F0: E05C1400 80855823
	v_mfma_f32_16x16x32_fp8_fp8 v[196:199], a[116:117], v[132:133], v[196:199]// 0000000074F8: D3F300C4 0F130974
	v_mfma_f32_16x16x32_fp8_fp8 v[196:199], a[118:119], v[134:135], v[196:199]// 000000007500: D3F300C4 0F130D76
	v_mfma_f32_16x16x32_fp8_fp8 v[196:199], a[120:121], v[136:137], v[196:199]// 000000007508: D3F300C4 0F131178
	v_mfma_f32_16x16x32_fp8_fp8 v[196:199], a[122:123], v[138:139], v[196:199]// 000000007510: D3F300C4 0F13157A
	buffer_load_dwordx4 a[92:95], v36, s[20:23], 0 offen offset:1024// 000000007518: E05C1400 80855C24
	v_mfma_f32_16x16x32_fp8_fp8 v[196:199], a[124:125], v[140:141], v[196:199]// 000000007520: D3F300C4 0F13197C
	s_lshr_b32 s57, s70, 4                                     // 000000007528: 8F398446
	s_add_u32 s57, 48, s57                                     // 00000000752C: 803939B0
	v_mfma_f32_16x16x32_fp8_fp8 v[196:199], a[126:127], v[142:143], v[196:199]// 000000007530: D3F300C4 0F131D7E
	s_cmp_ge_u32 s57, s73                                      // 000000007538: BF094939
	s_cselect_b32 s56, 0, s56                                  // 00000000753C: 85383880
	v_add_u32_e32 v1, s56, v1                                  // 000000007540: 68020238
	s_addk_i32 s70, 0x100                                      // 000000007544: B7460100
	s_cmp_lt_i32 s70, s71                                      // 000000007548: BF044746
	s_cbranch_scc0 label_14D5                                  // 00000000754C: BF840001
	s_branch label_0F4C                                        // 000000007550: BF82FA77

0000000000007554 <label_14D5>:
	s_nop 0                                                    // 000000007554: BF800000
	s_nop 0                                                    // 000000007558: BF800000
	s_branch label_1A61                                        // 00000000755C: BF820589

0000000000007560 <label_14D8>:
	s_waitcnt vmcnt(8) lgkmcnt(0)                              // 000000007560: BF8C0078
	v_mul_u32_u24_dpp v41, v20, v68 row_newbcast:0 row_mask:0xf bank_mask:0xf// 000000007564: 105288FA FF015014
	v_mul_u32_u24_dpp v42, v20, v68 row_newbcast:4 row_mask:0xf bank_mask:0xf// 00000000756C: 105488FA FF015414
	v_mul_u32_u24_dpp v43, v20, v68 row_newbcast:8 row_mask:0xf bank_mask:0xf// 000000007574: 105688FA FF015814
	v_mul_u32_u24_dpp v44, v20, v68 row_newbcast:12 row_mask:0xf bank_mask:0xf// 00000000757C: 105888FA FF015C14
	v_add_u32_e32 v29, v41, v6                                 // 000000007584: 683A0D29
	v_add_u32_e32 v30, v42, v6                                 // 000000007588: 683C0D2A
	v_add_u32_e32 v31, v43, v6                                 // 00000000758C: 683E0D2B
	v_add_u32_e32 v32, v44, v6                                 // 000000007590: 68400D2C
	v_mul_u32_u24_dpp v41, v20, v78 quad_perm:[0,0,0,0] row_mask:0xf bank_mask:0xf// 000000007594: 10529CFA FF000014
	v_add_u32_e32 v3, v41, v74                                 // 00000000759C: 68069529
	v_mul_u32_u24_dpp v41, v20, v78 quad_perm:[0,0,0,0] row_mask:0xf bank_mask:0xf// 0000000075A0: 10529CFA FF000014
	v_add_u32_e32 v71, v41, v75                                // 0000000075A8: 688E9729
	v_mfma_f32_16x16x32_fp8_fp8 v[128:131], a[0:1], v[96:97], 0// 0000000075AC: D3F30080 0A02C100
	buffer_load_dwordx4 a[32:35], v29, s[16:19], 0 offen       // 0000000075B4: E05C1000 8084201D
	v_mfma_f32_16x16x32_fp8_fp8 v[128:131], a[2:3], v[98:99], v[128:131]// 0000000075BC: D3F30080 0E02C502
	v_mfma_f32_16x16x32_fp8_fp8 v[128:131], a[4:5], v[100:101], v[128:131]// 0000000075C4: D3F30080 0E02C904
	buffer_load_dword v19, v1, s[24:27], 0 offen               // 0000000075CC: E0501000 80061301
	v_mfma_f32_16x16x32_fp8_fp8 v[128:131], a[6:7], v[102:103], v[128:131]// 0000000075D4: D3F30080 0E02CD06
	v_mfma_f32_16x16x32_fp8_fp8 v[132:135], a[8:9], v[96:97], 0// 0000000075DC: D3F30084 0A02C108
	buffer_load_dwordx4 a[36:39], v29, s[16:19], 0 offen offset:1024// 0000000075E4: E05C1400 8084241D
	v_mfma_f32_16x16x32_fp8_fp8 v[132:135], a[10:11], v[98:99], v[132:135]// 0000000075EC: D3F30084 0E12C50A
	v_mfma_f32_16x16x32_fp8_fp8 v[132:135], a[12:13], v[100:101], v[132:135]// 0000000075F4: D3F30084 0E12C90C
	v_mfma_f32_16x16x32_fp8_fp8 v[132:135], a[14:15], v[102:103], v[132:135]// 0000000075FC: D3F30084 0E12CD0E
	v_mfma_f32_16x16x32_fp8_fp8 v[136:139], a[16:17], v[96:97], 0// 000000007604: D3F30088 0A02C110
	buffer_load_dwordx4 a[40:43], v30, s[16:19], 0 offen       // 00000000760C: E05C1000 8084281E
	v_mfma_f32_16x16x32_fp8_fp8 v[136:139], a[18:19], v[98:99], v[136:139]// 000000007614: D3F30088 0E22C512
	v_mfma_f32_16x16x32_fp8_fp8 v[136:139], a[20:21], v[100:101], v[136:139]// 00000000761C: D3F30088 0E22C914
	v_mfma_f32_16x16x32_fp8_fp8 v[136:139], a[22:23], v[102:103], v[136:139]// 000000007624: D3F30088 0E22CD16
	v_mfma_f32_16x16x32_fp8_fp8 v[140:143], a[24:25], v[96:97], 0// 00000000762C: D3F3008C 0A02C118
	buffer_load_dwordx4 a[44:47], v30, s[16:19], 0 offen offset:1024// 000000007634: E05C1400 80842C1E
	v_mfma_f32_16x16x32_fp8_fp8 v[140:143], a[26:27], v[98:99], v[140:143]// 00000000763C: D3F3008C 0E32C51A
	v_mfma_f32_16x16x32_fp8_fp8 v[140:143], a[28:29], v[100:101], v[140:143]// 000000007644: D3F3008C 0E32C91C
	v_mfma_f32_16x16x32_fp8_fp8 v[140:143], a[30:31], v[102:103], v[140:143]// 00000000764C: D3F3008C 0E32CD1E
	buffer_load_dword v53, v3, s[32:35], 0 offen               // 000000007654: E0501000 80083503
	v_mov_b32_dpp v41, v52 row_shr:4 row_mask:0xf bank_mask:0xf// 00000000765C: 7E5202FA FF011434
	v_mov_b32_dpp v42, v52 row_shl:4 row_mask:0xf bank_mask:0xf// 000000007664: 7E5402FA FF010434
	v_cndmask_b32_e64 v248, v52, v41, s[44:45]                 // 00000000766C: D10000F8 00B25334
	v_cndmask_b32_e64 v249, v42, v52, s[44:45]                 // 000000007674: D10000F9 00B2692A
	v_mov_b32_dpp v41, v248 row_shr:8 row_mask:0xf bank_mask:0xf// 00000000767C: 7E5202FA FF0118F8
	v_mov_b32_dpp v42, v248 row_shl:8 row_mask:0xf bank_mask:0xf// 000000007684: 7E5402FA FF0108F8
	v_mov_b32_dpp v43, v249 row_shr:8 row_mask:0xf bank_mask:0xf// 00000000768C: 7E5602FA FF0118F9
	v_mov_b32_dpp v44, v249 row_shl:8 row_mask:0xf bank_mask:0xf// 000000007694: 7E5802FA FF0108F9
	v_mov_b32_e32 v45, v248                                    // 00000000769C: 7E5A03F8
	v_mov_b32_e32 v46, v249                                    // 0000000076A0: 7E5C03F9
	v_cndmask_b32_e64 v248, v45, v41, s[42:43]                 // 0000000076A4: D10000F8 00AA532D
	v_cndmask_b32_e64 v250, v45, v42, s[78:79]                 // 0000000076AC: D10000FA 013A552D
	v_cndmask_b32_e64 v249, v46, v43, s[42:43]                 // 0000000076B4: D10000F9 00AA572E
	v_cndmask_b32_e64 v251, v46, v44, s[78:79]                 // 0000000076BC: D10000FB 013A592E
	v_mov_b32_dpp v41, v72 row_shr:4 row_mask:0xf bank_mask:0xf// 0000000076C4: 7E5202FA FF011448
	v_mov_b32_dpp v42, v72 row_shl:4 row_mask:0xf bank_mask:0xf// 0000000076CC: 7E5402FA FF010448
	v_cndmask_b32_e64 v252, v72, v41, s[44:45]                 // 0000000076D4: D10000FC 00B25348
	v_cndmask_b32_e64 v253, v42, v72, s[44:45]                 // 0000000076DC: D10000FD 00B2912A
	v_mov_b32_dpp v41, v252 row_shr:8 row_mask:0xf bank_mask:0xf// 0000000076E4: 7E5202FA FF0118FC
	v_mov_b32_dpp v42, v252 row_shl:8 row_mask:0xf bank_mask:0xf// 0000000076EC: 7E5402FA FF0108FC
	v_mov_b32_dpp v43, v253 row_shr:8 row_mask:0xf bank_mask:0xf// 0000000076F4: 7E5602FA FF0118FD
	v_mov_b32_dpp v44, v253 row_shl:8 row_mask:0xf bank_mask:0xf// 0000000076FC: 7E5802FA FF0108FD
	v_mov_b32_e32 v45, v252                                    // 000000007704: 7E5A03FC
	v_mov_b32_e32 v46, v253                                    // 000000007708: 7E5C03FD
	v_cndmask_b32_e64 v252, v45, v41, s[42:43]                 // 00000000770C: D10000FC 00AA532D
	v_cndmask_b32_e64 v254, v45, v42, s[78:79]                 // 000000007714: D10000FE 013A552D
	v_cndmask_b32_e64 v253, v46, v43, s[42:43]                 // 00000000771C: D10000FD 00AA572E
	v_cndmask_b32_e64 v255, v46, v44, s[78:79]                 // 000000007724: D10000FF 013A592E
	buffer_load_dword v73, v71, s[36:39], 0 offen              // 00000000772C: E0501000 80094947
	v_mul_f32_e32 v128, v54, v128                              // 000000007734: 0B010136
	v_mul_f32_e32 v129, v54, v129                              // 000000007738: 0B030336
	v_mul_f32_e32 v130, v54, v130                              // 00000000773C: 0B050536
	v_mul_f32_e32 v131, v54, v131                              // 000000007740: 0B070736
	v_mul_f32_e32 v132, v54, v132                              // 000000007744: 0B090936
	v_mul_f32_e32 v133, v54, v133                              // 000000007748: 0B0B0B36
	v_mul_f32_e32 v134, v54, v134                              // 00000000774C: 0B0D0D36
	v_mul_f32_e32 v135, v54, v135                              // 000000007750: 0B0F0F36
	v_mul_f32_e32 v136, v54, v136                              // 000000007754: 0B111136
	v_mul_f32_e32 v137, v54, v137                              // 000000007758: 0B131336
	v_mul_f32_e32 v138, v54, v138                              // 00000000775C: 0B151536
	v_mul_f32_e32 v139, v54, v139                              // 000000007760: 0B171736
	v_mul_f32_e32 v140, v54, v140                              // 000000007764: 0B191936
	v_mul_f32_e32 v141, v54, v141                              // 000000007768: 0B1B1B36
	v_mul_f32_e32 v142, v54, v142                              // 00000000776C: 0B1D1D36
	v_mul_f32_e32 v143, v54, v143                              // 000000007770: 0B1F1F36
	buffer_load_dwordx4 a[48:51], v31, s[16:19], 0 offen       // 000000007774: E05C1000 8084301F
	v_mul_f32_dpp v128, v248, v128 quad_perm:[0,0,0,0] row_mask:0xf bank_mask:0xf// 00000000777C: 0B0100FA FF0000F8
	v_mul_f32_dpp v129, v248, v129 quad_perm:[1,1,1,1] row_mask:0xf bank_mask:0xf// 000000007784: 0B0302FA FF0055F8
	v_mul_f32_dpp v130, v248, v130 quad_perm:[2,2,2,2] row_mask:0xf bank_mask:0xf// 00000000778C: 0B0504FA FF00AAF8
	v_mul_f32_dpp v131, v248, v131 quad_perm:[3,3,3,3] row_mask:0xf bank_mask:0xf// 000000007794: 0B0706FA FF00FFF8
	v_mul_f32_dpp v132, v249, v132 quad_perm:[0,0,0,0] row_mask:0xf bank_mask:0xf// 00000000779C: 0B0908FA FF0000F9
	v_mul_f32_dpp v133, v249, v133 quad_perm:[1,1,1,1] row_mask:0xf bank_mask:0xf// 0000000077A4: 0B0B0AFA FF0055F9
	v_mul_f32_dpp v134, v249, v134 quad_perm:[2,2,2,2] row_mask:0xf bank_mask:0xf// 0000000077AC: 0B0D0CFA FF00AAF9
	v_mul_f32_dpp v135, v249, v135 quad_perm:[3,3,3,3] row_mask:0xf bank_mask:0xf// 0000000077B4: 0B0F0EFA FF00FFF9
	v_mul_f32_dpp v136, v250, v136 quad_perm:[0,0,0,0] row_mask:0xf bank_mask:0xf// 0000000077BC: 0B1110FA FF0000FA
	v_mul_f32_dpp v137, v250, v137 quad_perm:[1,1,1,1] row_mask:0xf bank_mask:0xf// 0000000077C4: 0B1312FA FF0055FA
	v_mul_f32_dpp v138, v250, v138 quad_perm:[2,2,2,2] row_mask:0xf bank_mask:0xf// 0000000077CC: 0B1514FA FF00AAFA
	v_mul_f32_dpp v139, v250, v139 quad_perm:[3,3,3,3] row_mask:0xf bank_mask:0xf// 0000000077D4: 0B1716FA FF00FFFA
	v_mul_f32_dpp v140, v251, v140 quad_perm:[0,0,0,0] row_mask:0xf bank_mask:0xf// 0000000077DC: 0B1918FA FF0000FB
	v_mul_f32_dpp v141, v251, v141 quad_perm:[1,1,1,1] row_mask:0xf bank_mask:0xf// 0000000077E4: 0B1B1AFA FF0055FB
	v_mul_f32_dpp v142, v251, v142 quad_perm:[2,2,2,2] row_mask:0xf bank_mask:0xf// 0000000077EC: 0B1D1CFA FF00AAFB
	v_mul_f32_dpp v143, v251, v143 quad_perm:[3,3,3,3] row_mask:0xf bank_mask:0xf// 0000000077F4: 0B1F1EFA FF00FFFB
	buffer_load_dwordx4 a[52:55], v31, s[16:19], 0 offen offset:1024// 0000000077FC: E05C1400 8084341F
	s_cmp_le_i32 s90, s89                                      // 000000007804: BF05595A
	s_cbranch_scc1 label_15F6                                  // 000000007808: BF850073
	v_mov_b32_e32 v69, 0xff800000                              // 00000000780C: 7E8A02FF FF800000
	s_mov_b32 s60, s90                                         // 000000007814: BEBC005A
	s_add_u32 s61, s89, 0xff                                   // 000000007818: 803DFF59 000000FF
	v_mov_b32_e32 v41, s61                                     // 000000007820: 7E52023D
	v_lshrrev_b32_e32 v240, 4, v0                              // 000000007824: 21E00084
	v_mul_i32_i24_e32 v240, 4, v240                            // 000000007828: 0DE1E084
	v_add_u32_e32 v240, s60, v240                              // 00000000782C: 69E1E03C
	v_and_b32_e32 v42, 15, v0                                  // 000000007830: 2654008F
	v_lshrrev_b32_e32 v42, 3, v42                              // 000000007834: 20545483
	s_mov_b32 s61, 0                                           // 000000007838: BEBD0080
	s_mul_i32 s60, 16, s7                                      // 00000000783C: 923C0790
	v_add_u32_e32 v42, s61, v42                                // 000000007840: 6854543D
	v_sub_u32_e32 v240, v240, v42                              // 000000007844: 6BE055F0
	v_add_u32_e32 v240, s60, v240                              // 000000007848: 69E1E03C
	v_add_u32_e32 v241, 1, v240                                // 00000000784C: 69E3E081
	v_add_u32_e32 v242, 2, v240                                // 000000007850: 69E5E082
	v_add_u32_e32 v243, 3, v240                                // 000000007854: 69E7E083
	v_cmp_le_u32_e64 s[40:41], v240, v41                       // 000000007858: D0CB0028 000253F0
	v_add_u32_e32 v240, 64, v240                               // 000000007860: 69E1E0C0
	s_nop 0                                                    // 000000007864: BF800000
	v_cndmask_b32_e64 v128, v69, v128, s[40:41]                // 000000007868: D1000080 00A30145
	v_cmp_le_u32_e64 s[40:41], v241, v41                       // 000000007870: D0CB0028 000253F1
	v_add_u32_e32 v241, 64, v241                               // 000000007878: 69E3E2C0
	s_nop 0                                                    // 00000000787C: BF800000
	v_cndmask_b32_e64 v129, v69, v129, s[40:41]                // 000000007880: D1000081 00A30345
	v_cmp_le_u32_e64 s[40:41], v242, v41                       // 000000007888: D0CB0028 000253F2
	v_add_u32_e32 v242, 64, v242                               // 000000007890: 69E5E4C0
	s_nop 0                                                    // 000000007894: BF800000
	v_cndmask_b32_e64 v130, v69, v130, s[40:41]                // 000000007898: D1000082 00A30545
	v_cmp_le_u32_e64 s[40:41], v243, v41                       // 0000000078A0: D0CB0028 000253F3
	v_add_u32_e32 v243, 64, v243                               // 0000000078A8: 69E7E6C0
	s_nop 0                                                    // 0000000078AC: BF800000
	v_cndmask_b32_e64 v131, v69, v131, s[40:41]                // 0000000078B0: D1000083 00A30745
	v_cmp_le_u32_e64 s[40:41], v240, v41                       // 0000000078B8: D0CB0028 000253F0
	v_add_u32_e32 v240, 64, v240                               // 0000000078C0: 69E1E0C0
	s_nop 0                                                    // 0000000078C4: BF800000
	v_cndmask_b32_e64 v132, v69, v132, s[40:41]                // 0000000078C8: D1000084 00A30945
	v_cmp_le_u32_e64 s[40:41], v241, v41                       // 0000000078D0: D0CB0028 000253F1
	v_add_u32_e32 v241, 64, v241                               // 0000000078D8: 69E3E2C0
	s_nop 0                                                    // 0000000078DC: BF800000
	v_cndmask_b32_e64 v133, v69, v133, s[40:41]                // 0000000078E0: D1000085 00A30B45
	v_cmp_le_u32_e64 s[40:41], v242, v41                       // 0000000078E8: D0CB0028 000253F2
	v_add_u32_e32 v242, 64, v242                               // 0000000078F0: 69E5E4C0
	s_nop 0                                                    // 0000000078F4: BF800000
	v_cndmask_b32_e64 v134, v69, v134, s[40:41]                // 0000000078F8: D1000086 00A30D45
	v_cmp_le_u32_e64 s[40:41], v243, v41                       // 000000007900: D0CB0028 000253F3
	v_add_u32_e32 v243, 64, v243                               // 000000007908: 69E7E6C0
	s_nop 0                                                    // 00000000790C: BF800000
	v_cndmask_b32_e64 v135, v69, v135, s[40:41]                // 000000007910: D1000087 00A30F45
	v_cmp_le_u32_e64 s[40:41], v240, v41                       // 000000007918: D0CB0028 000253F0
	v_add_u32_e32 v240, 64, v240                               // 000000007920: 69E1E0C0
	s_nop 0                                                    // 000000007924: BF800000
	v_cndmask_b32_e64 v136, v69, v136, s[40:41]                // 000000007928: D1000088 00A31145
	v_cmp_le_u32_e64 s[40:41], v241, v41                       // 000000007930: D0CB0028 000253F1
	v_add_u32_e32 v241, 64, v241                               // 000000007938: 69E3E2C0
	s_nop 0                                                    // 00000000793C: BF800000
	v_cndmask_b32_e64 v137, v69, v137, s[40:41]                // 000000007940: D1000089 00A31345
	v_cmp_le_u32_e64 s[40:41], v242, v41                       // 000000007948: D0CB0028 000253F2
	v_add_u32_e32 v242, 64, v242                               // 000000007950: 69E5E4C0
	s_nop 0                                                    // 000000007954: BF800000
	v_cndmask_b32_e64 v138, v69, v138, s[40:41]                // 000000007958: D100008A 00A31545
	v_cmp_le_u32_e64 s[40:41], v243, v41                       // 000000007960: D0CB0028 000253F3
	v_add_u32_e32 v243, 64, v243                               // 000000007968: 69E7E6C0
	s_nop 0                                                    // 00000000796C: BF800000
	v_cndmask_b32_e64 v139, v69, v139, s[40:41]                // 000000007970: D100008B 00A31745
	v_cmp_le_u32_e64 s[40:41], v240, v41                       // 000000007978: D0CB0028 000253F0
	v_add_u32_e32 v240, 64, v240                               // 000000007980: 69E1E0C0
	s_nop 0                                                    // 000000007984: BF800000
	v_cndmask_b32_e64 v140, v69, v140, s[40:41]                // 000000007988: D100008C 00A31945
	v_cmp_le_u32_e64 s[40:41], v241, v41                       // 000000007990: D0CB0028 000253F1
	v_add_u32_e32 v241, 64, v241                               // 000000007998: 69E3E2C0
	s_nop 0                                                    // 00000000799C: BF800000
	v_cndmask_b32_e64 v141, v69, v141, s[40:41]                // 0000000079A0: D100008D 00A31B45
	v_cmp_le_u32_e64 s[40:41], v242, v41                       // 0000000079A8: D0CB0028 000253F2
	v_add_u32_e32 v242, 64, v242                               // 0000000079B0: 69E5E4C0
	s_nop 0                                                    // 0000000079B4: BF800000
	v_cndmask_b32_e64 v142, v69, v142, s[40:41]                // 0000000079B8: D100008E 00A31D45
	v_cmp_le_u32_e64 s[40:41], v243, v41                       // 0000000079C0: D0CB0028 000253F3
	v_add_u32_e32 v243, 64, v243                               // 0000000079C8: 69E7E6C0
	s_nop 0                                                    // 0000000079CC: BF800000
	v_cndmask_b32_e64 v143, v69, v143, s[40:41]                // 0000000079D0: D100008F 00A31F45

00000000000079d8 <label_15F6>:
	s_add_u32 s90, s91, s90                                    // 0000000079D8: 805A5A5B
	v_mov_b32_e32 v62, v128                                    // 0000000079DC: 7E7C0380
	v_max3_f32 v62, v128, v129, v62                            // 0000000079E0: D1D3003E 04FB0380
	v_max3_f32 v62, v130, v131, v62                            // 0000000079E8: D1D3003E 04FB0782
	v_max3_f32 v62, v132, v133, v62                            // 0000000079F0: D1D3003E 04FB0B84
	v_max3_f32 v62, v134, v135, v62                            // 0000000079F8: D1D3003E 04FB0F86
	v_max3_f32 v62, v136, v137, v62                            // 000000007A00: D1D3003E 04FB1388
	v_max3_f32 v62, v138, v139, v62                            // 000000007A08: D1D3003E 04FB178A
	v_max3_f32 v62, v140, v141, v62                            // 000000007A10: D1D3003E 04FB1B8C
	v_max3_f32 v62, v142, v143, v62                            // 000000007A18: D1D3003E 04FB1F8E
	ds_write_b32 v11, v62 offset:16896                         // 000000007A20: D81A4200 00003E0B
	buffer_load_dwordx4 a[56:59], v32, s[16:19], 0 offen       // 000000007A28: E05C1000 80843820
	v_mul_u32_u24_dpp v41, v20, v68 row_newbcast:1 row_mask:0xf bank_mask:0xf// 000000007A30: 105288FA FF015114
	v_mul_u32_u24_dpp v42, v20, v68 row_newbcast:5 row_mask:0xf bank_mask:0xf// 000000007A38: 105488FA FF015514
	v_mul_u32_u24_dpp v43, v20, v68 row_newbcast:9 row_mask:0xf bank_mask:0xf// 000000007A40: 105688FA FF015914
	v_mul_u32_u24_dpp v44, v20, v68 row_newbcast:13 row_mask:0xf bank_mask:0xf// 000000007A48: 105888FA FF015D14
	v_add_u32_e32 v37, v41, v7                                 // 000000007A50: 684A0F29
	v_add_u32_e32 v38, v42, v7                                 // 000000007A54: 684C0F2A
	v_add_u32_e32 v39, v43, v7                                 // 000000007A58: 684E0F2B
	v_add_u32_e32 v40, v44, v7                                 // 000000007A5C: 68500F2C
	v_mul_f32_e32 v224, v63, v224                              // 000000007A60: 0BC1C13F
	v_mul_f32_e32 v225, v63, v225                              // 000000007A64: 0BC3C33F
	v_mul_f32_e32 v226, v63, v226                              // 000000007A68: 0BC5C53F
	v_mul_f32_e32 v227, v63, v227                              // 000000007A6C: 0BC7C73F
	v_mul_f32_e32 v228, v63, v228                              // 000000007A70: 0BC9C93F
	v_mul_f32_e32 v229, v63, v229                              // 000000007A74: 0BCBCB3F
	v_mul_f32_e32 v230, v63, v230                              // 000000007A78: 0BCDCD3F
	v_mul_f32_e32 v231, v63, v231                              // 000000007A7C: 0BCFCF3F
	s_waitcnt lgkmcnt(0)                                       // 000000007A80: BF8CC07F
	s_barrier                                                  // 000000007A84: BF8A0000
	ds_read_b32 v80, v10 offset:16896                          // 000000007A88: D86C4200 5000000A
	ds_read_b32 v81, v10 offset:16960                          // 000000007A90: D86C4240 5100000A
	ds_read_b32 v82, v10 offset:17024                          // 000000007A98: D86C4280 5200000A
	ds_read_b32 v83, v10 offset:17088                          // 000000007AA0: D86C42C0 5300000A
	ds_read_b32 v84, v10 offset:17152                          // 000000007AA8: D86C4300 5400000A
	ds_read_b32 v85, v10 offset:17216                          // 000000007AB0: D86C4340 5500000A
	ds_read_b32 v86, v10 offset:17280                          // 000000007AB8: D86C4380 5600000A
	ds_read_b32 v87, v10 offset:17344                          // 000000007AC0: D86C43C0 5700000A
	ds_read_b32 v88, v10 offset:17408                          // 000000007AC8: D86C4400 5800000A
	ds_read_b32 v89, v10 offset:17472                          // 000000007AD0: D86C4440 5900000A
	ds_read_b32 v90, v10 offset:17536                          // 000000007AD8: D86C4480 5A00000A
	ds_read_b32 v91, v10 offset:17600                          // 000000007AE0: D86C44C0 5B00000A
	ds_read_b32 v92, v10 offset:17664                          // 000000007AE8: D86C4500 5C00000A
	ds_read_b32 v93, v10 offset:17728                          // 000000007AF0: D86C4540 5D00000A
	ds_read_b32 v94, v10 offset:17792                          // 000000007AF8: D86C4580 5E00000A
	ds_read_b32 v95, v10 offset:17856                          // 000000007B00: D86C45C0 5F00000A
	buffer_load_dwordx4 a[60:63], v32, s[16:19], 0 offen offset:1024// 000000007B08: E05C1400 80843C20
	v_mul_f32_e32 v192, v58, v192                              // 000000007B10: 0B81813A
	v_mul_f32_e32 v193, v58, v193                              // 000000007B14: 0B83833A
	v_mul_f32_e32 v194, v58, v194                              // 000000007B18: 0B85853A
	v_mul_f32_e32 v195, v58, v195                              // 000000007B1C: 0B87873A
	v_mul_f32_e32 v196, v58, v196                              // 000000007B20: 0B89893A
	v_mul_f32_e32 v197, v58, v197                              // 000000007B24: 0B8B8B3A
	v_mul_f32_e32 v198, v58, v198                              // 000000007B28: 0B8D8D3A
	v_mul_f32_e32 v199, v58, v199                              // 000000007B2C: 0B8F8F3A
	s_waitcnt lgkmcnt(0)                                       // 000000007B30: BF8CC07F
	v_max3_f32 v62, v80, v81, v62                              // 000000007B34: D1D3003E 04FAA350
	v_max3_f32 v62, v82, v83, v62                              // 000000007B3C: D1D3003E 04FAA752
	v_max3_f32 v62, v84, v85, v62                              // 000000007B44: D1D3003E 04FAAB54
	v_max3_f32 v62, v86, v87, v62                              // 000000007B4C: D1D3003E 04FAAF56
	v_max3_f32 v62, v88, v89, v62                              // 000000007B54: D1D3003E 04FAB358
	v_max3_f32 v62, v90, v91, v62                              // 000000007B5C: D1D3003E 04FAB75A
	v_max3_f32 v62, v92, v93, v62                              // 000000007B64: D1D3003E 04FABB5C
	v_max3_f32 v62, v94, v95, v62                              // 000000007B6C: D1D3003E 04FABF5E
	buffer_load_dwordx4 a[96:99], v37, s[20:23], 0 offen       // 000000007B74: E05C1000 80856025
	v_mov_b32_e32 v41, 0xff800000                              // 000000007B7C: 7E5202FF FF800000
	v_cmp_eq_u32_e64 s[40:41], v41, v14                        // 000000007B84: D0CA0028 00021D29
	s_nop 1                                                    // 000000007B8C: BF800001
	v_max_f32_e32 v18, v62, v14                                // 000000007B90: 16241D3E
	v_mul_f32_e32 v67, s64, v18                                // 000000007B94: 0A862440
	v_fma_f32 v128, v128, s64, -v67                            // 000000007B98: D1CB0080 850C8180
	v_fma_f32 v129, v129, s64, -v67                            // 000000007BA0: D1CB0081 850C8181
	v_fma_f32 v130, v130, s64, -v67                            // 000000007BA8: D1CB0082 850C8182
	v_fma_f32 v131, v131, s64, -v67                            // 000000007BB0: D1CB0083 850C8183
	v_fma_f32 v132, v132, s64, -v67                            // 000000007BB8: D1CB0084 850C8184
	v_fma_f32 v133, v133, s64, -v67                            // 000000007BC0: D1CB0085 850C8185
	v_fma_f32 v134, v134, s64, -v67                            // 000000007BC8: D1CB0086 850C8186
	v_fma_f32 v135, v135, s64, -v67                            // 000000007BD0: D1CB0087 850C8187
	v_fma_f32 v136, v136, s64, -v67                            // 000000007BD8: D1CB0088 850C8188
	v_fma_f32 v137, v137, s64, -v67                            // 000000007BE0: D1CB0089 850C8189
	v_fma_f32 v138, v138, s64, -v67                            // 000000007BE8: D1CB008A 850C818A
	v_fma_f32 v139, v139, s64, -v67                            // 000000007BF0: D1CB008B 850C818B
	v_fma_f32 v140, v140, s64, -v67                            // 000000007BF8: D1CB008C 850C818C
	v_fma_f32 v141, v141, s64, -v67                            // 000000007C00: D1CB008D 850C818D
	v_fma_f32 v142, v142, s64, -v67                            // 000000007C08: D1CB008E 850C818E
	v_fma_f32 v143, v143, s64, -v67                            // 000000007C10: D1CB008F 850C818F
	buffer_load_dwordx4 a[100:103], v38, s[20:23], 0 offen     // 000000007C18: E05C1000 80856426
	v_exp_f32_e32 v128, v128                                   // 000000007C20: 7F004180
	v_exp_f32_e32 v129, v129                                   // 000000007C24: 7F024181
	v_exp_f32_e32 v130, v130                                   // 000000007C28: 7F044182
	v_exp_f32_e32 v131, v131                                   // 000000007C2C: 7F064183
	v_exp_f32_e32 v132, v132                                   // 000000007C30: 7F084184
	v_exp_f32_e32 v133, v133                                   // 000000007C34: 7F0A4185
	v_exp_f32_e32 v134, v134                                   // 000000007C38: 7F0C4186
	v_exp_f32_e32 v135, v135                                   // 000000007C3C: 7F0E4187
	v_exp_f32_e32 v136, v136                                   // 000000007C40: 7F104188
	v_exp_f32_e32 v137, v137                                   // 000000007C44: 7F124189
	v_exp_f32_e32 v138, v138                                   // 000000007C48: 7F14418A
	v_exp_f32_e32 v139, v139                                   // 000000007C4C: 7F16418B
	v_exp_f32_e32 v140, v140                                   // 000000007C50: 7F18418C
	v_exp_f32_e32 v141, v141                                   // 000000007C54: 7F1A418D
	v_exp_f32_e32 v142, v142                                   // 000000007C58: 7F1C418E
	v_exp_f32_e32 v143, v143                                   // 000000007C5C: 7F1E418F
	buffer_load_dwordx4 a[104:107], v39, s[20:23], 0 offen     // 000000007C60: E05C1000 80856827
	v_mul_f32_dpp v240, v252, v128 quad_perm:[0,0,0,0] row_mask:0xf bank_mask:0xf// 000000007C68: 0BE100FA FF0000FC
	v_mul_f32_dpp v241, v252, v129 quad_perm:[1,1,1,1] row_mask:0xf bank_mask:0xf// 000000007C70: 0BE302FA FF0055FC
	v_mul_f32_dpp v242, v252, v130 quad_perm:[2,2,2,2] row_mask:0xf bank_mask:0xf// 000000007C78: 0BE504FA FF00AAFC
	v_mul_f32_dpp v243, v252, v131 quad_perm:[3,3,3,3] row_mask:0xf bank_mask:0xf// 000000007C80: 0BE706FA FF00FFFC
	v_mul_f32_dpp v244, v253, v132 quad_perm:[0,0,0,0] row_mask:0xf bank_mask:0xf// 000000007C88: 0BE908FA FF0000FD
	v_mul_f32_dpp v245, v253, v133 quad_perm:[1,1,1,1] row_mask:0xf bank_mask:0xf// 000000007C90: 0BEB0AFA FF0055FD
	v_mul_f32_dpp v246, v253, v134 quad_perm:[2,2,2,2] row_mask:0xf bank_mask:0xf// 000000007C98: 0BED0CFA FF00AAFD
	v_mul_f32_dpp v247, v253, v135 quad_perm:[3,3,3,3] row_mask:0xf bank_mask:0xf// 000000007CA0: 0BEF0EFA FF00FFFD
	v_mul_f32_dpp v248, v254, v136 quad_perm:[0,0,0,0] row_mask:0xf bank_mask:0xf// 000000007CA8: 0BF110FA FF0000FE
	v_mul_f32_dpp v249, v254, v137 quad_perm:[1,1,1,1] row_mask:0xf bank_mask:0xf// 000000007CB0: 0BF312FA FF0055FE
	v_mul_f32_dpp v250, v254, v138 quad_perm:[2,2,2,2] row_mask:0xf bank_mask:0xf// 000000007CB8: 0BF514FA FF00AAFE
	v_mul_f32_dpp v251, v254, v139 quad_perm:[3,3,3,3] row_mask:0xf bank_mask:0xf// 000000007CC0: 0BF716FA FF00FFFE
	v_mul_f32_dpp v252, v255, v140 quad_perm:[0,0,0,0] row_mask:0xf bank_mask:0xf// 000000007CC8: 0BF918FA FF0000FF
	v_mul_f32_dpp v253, v255, v141 quad_perm:[1,1,1,1] row_mask:0xf bank_mask:0xf// 000000007CD0: 0BFB1AFA FF0055FF
	v_mul_f32_dpp v254, v255, v142 quad_perm:[2,2,2,2] row_mask:0xf bank_mask:0xf// 000000007CD8: 0BFD1CFA FF00AAFF
	v_mul_f32_dpp v255, v255, v143 quad_perm:[3,3,3,3] row_mask:0xf bank_mask:0xf// 000000007CE0: 0BFF1EFA FF00FFFF
	v_mov_b32_e32 v62, 0x358637bd                              // 000000007CE8: 7E7C02FF 358637BD
	v_max3_f32 v62, |v240|, |v241|, v62                        // 000000007CF0: D1D3033E 04FBE3F0
	v_max3_f32 v62, |v242|, |v243|, v62                        // 000000007CF8: D1D3033E 04FBE7F2
	v_max3_f32 v62, |v244|, |v245|, v62                        // 000000007D00: D1D3033E 04FBEBF4
	v_max3_f32 v62, |v246|, |v247|, v62                        // 000000007D08: D1D3033E 04FBEFF6
	v_max3_f32 v62, |v248|, |v249|, v62                        // 000000007D10: D1D3033E 04FBF3F8
	v_max3_f32 v62, |v250|, |v251|, v62                        // 000000007D18: D1D3033E 04FBF7FA
	v_max3_f32 v62, |v252|, |v253|, v62                        // 000000007D20: D1D3033E 04FBFBFC
	v_max3_f32 v62, |v254|, |v255|, v62                        // 000000007D28: D1D3033E 04FBFFFE
	buffer_load_dwordx4 a[108:111], v40, s[20:23], 0 offen     // 000000007D30: E05C1000 80856C28
	ds_write_b32 v11, v62 offset:20992                         // 000000007D38: D81A5200 00003E0B
	v_sub_f32_e32 v63, v14, v18                                // 000000007D40: 047E250E
	v_cndmask_b32_e64 v63, v63, 0, s[40:41]                    // 000000007D44: D100003F 00A1013F
	v_mov_b32_e32 v14, v18                                     // 000000007D4C: 7E1C0312
	v_mul_f32_e32 v63, s64, v63                                // 000000007D50: 0A7E7E40
	v_exp_f32_e32 v63, v63                                     // 000000007D54: 7E7E413F
	s_waitcnt lgkmcnt(0)                                       // 000000007D58: BF8CC07F
	s_barrier                                                  // 000000007D5C: BF8A0000
	ds_read_b32 v80, v10 offset:20992                          // 000000007D60: D86C5200 5000000A
	ds_read_b32 v81, v10 offset:21056                          // 000000007D68: D86C5240 5100000A
	ds_read_b32 v82, v10 offset:21120                          // 000000007D70: D86C5280 5200000A
	ds_read_b32 v83, v10 offset:21184                          // 000000007D78: D86C52C0 5300000A
	ds_read_b32 v84, v10 offset:21248                          // 000000007D80: D86C5300 5400000A
	ds_read_b32 v85, v10 offset:21312                          // 000000007D88: D86C5340 5500000A
	ds_read_b32 v86, v10 offset:21376                          // 000000007D90: D86C5380 5600000A
	ds_read_b32 v87, v10 offset:21440                          // 000000007D98: D86C53C0 5700000A
	ds_read_b32 v88, v10 offset:21504                          // 000000007DA0: D86C5400 5800000A
	ds_read_b32 v89, v10 offset:21568                          // 000000007DA8: D86C5440 5900000A
	ds_read_b32 v90, v10 offset:21632                          // 000000007DB0: D86C5480 5A00000A
	ds_read_b32 v91, v10 offset:21696                          // 000000007DB8: D86C54C0 5B00000A
	ds_read_b32 v92, v10 offset:21760                          // 000000007DC0: D86C5500 5C00000A
	ds_read_b32 v93, v10 offset:21824                          // 000000007DC8: D86C5540 5D00000A
	ds_read_b32 v94, v10 offset:21888                          // 000000007DD0: D86C5580 5E00000A
	ds_read_b32 v95, v10 offset:21952                          // 000000007DD8: D86C55C0 5F00000A
	v_mul_f32_e32 v47, v63, v47                                // 000000007DE0: 0A5E5F3F
	v_mov_b32_e32 v18, v128                                    // 000000007DE4: 7E240380
	v_add_f32_e32 v18, v129, v18                               // 000000007DE8: 02242581
	v_add_f32_e32 v18, v130, v18                               // 000000007DEC: 02242582
	v_add_f32_e32 v18, v131, v18                               // 000000007DF0: 02242583
	v_add_f32_e32 v18, v132, v18                               // 000000007DF4: 02242584
	v_add_f32_e32 v18, v133, v18                               // 000000007DF8: 02242585
	v_add_f32_e32 v18, v134, v18                               // 000000007DFC: 02242586
	v_add_f32_e32 v18, v135, v18                               // 000000007E00: 02242587
	v_add_f32_e32 v18, v136, v18                               // 000000007E04: 02242588
	v_add_f32_e32 v18, v137, v18                               // 000000007E08: 02242589
	v_add_f32_e32 v18, v138, v18                               // 000000007E0C: 0224258A
	v_add_f32_e32 v18, v139, v18                               // 000000007E10: 0224258B
	v_add_f32_e32 v18, v140, v18                               // 000000007E14: 0224258C
	v_add_f32_e32 v18, v141, v18                               // 000000007E18: 0224258D
	v_add_f32_e32 v18, v142, v18                               // 000000007E1C: 0224258E
	v_add_f32_e32 v18, v143, v18                               // 000000007E20: 0224258F
	v_add_f32_e32 v47, v18, v47                                // 000000007E24: 025E5F12
	s_waitcnt lgkmcnt(0)                                       // 000000007E28: BF8CC07F
	v_max3_f32 v62, |v80|, |v81|, v62                          // 000000007E2C: D1D3033E 04FAA350
	v_max3_f32 v62, |v82|, |v83|, v62                          // 000000007E34: D1D3033E 04FAA752
	v_max3_f32 v62, |v84|, |v85|, v62                          // 000000007E3C: D1D3033E 04FAAB54
	v_max3_f32 v62, |v86|, |v87|, v62                          // 000000007E44: D1D3033E 04FAAF56
	v_max3_f32 v62, |v88|, |v89|, v62                          // 000000007E4C: D1D3033E 04FAB358
	v_max3_f32 v62, |v90|, |v91|, v62                          // 000000007E54: D1D3033E 04FAB75A
	v_max3_f32 v62, |v92|, |v93|, v62                          // 000000007E5C: D1D3033E 04FABB5C
	v_max3_f32 v62, |v94|, |v95|, v62                          // 000000007E64: D1D3033E 04FABF5E
	s_nop 2                                                    // 000000007E6C: BF800002
	v_rcp_f32_e32 v62, v62                                     // 000000007E70: 7E7C453E
	s_nop 1                                                    // 000000007E74: BF800001
	v_mul_f32_e32 v62, 0x43e00000, v62                         // 000000007E78: 0A7C7CFF 43E00000
	v_mul_f32_e32 v128, v62, v240                              // 000000007E80: 0B01E13E
	v_mul_f32_e32 v129, v62, v241                              // 000000007E84: 0B03E33E
	v_mul_f32_e32 v130, v62, v242                              // 000000007E88: 0B05E53E
	v_mul_f32_e32 v131, v62, v243                              // 000000007E8C: 0B07E73E
	v_mul_f32_e32 v132, v62, v244                              // 000000007E90: 0B09E93E
	v_mul_f32_e32 v133, v62, v245                              // 000000007E94: 0B0BEB3E
	v_mul_f32_e32 v134, v62, v246                              // 000000007E98: 0B0DED3E
	v_mul_f32_e32 v135, v62, v247                              // 000000007E9C: 0B0FEF3E
	v_mul_f32_e32 v136, v62, v248                              // 000000007EA0: 0B11F13E
	v_mul_f32_e32 v137, v62, v249                              // 000000007EA4: 0B13F33E
	v_mul_f32_e32 v138, v62, v250                              // 000000007EA8: 0B15F53E
	v_mul_f32_e32 v139, v62, v251                              // 000000007EAC: 0B17F73E
	v_mul_f32_e32 v140, v62, v252                              // 000000007EB0: 0B19F93E
	v_mul_f32_e32 v141, v62, v253                              // 000000007EB4: 0B1BFB3E
	v_mul_f32_e32 v142, v62, v254                              // 000000007EB8: 0B1DFD3E
	v_mul_f32_e32 v143, v62, v255                              // 000000007EBC: 0B1FFF3E
	v_cvt_pk_fp8_f32 v128, v128, v129                          // 000000007EC0: D2A20080 00030380
	v_cvt_pk_fp8_f32 v128, v130, v131 op_sel:[0,0,1]           // 000000007EC8: D2A24080 00030782
	v_cvt_pk_fp8_f32 v129, v132, v133                          // 000000007ED0: D2A20081 00030B84
	v_cvt_pk_fp8_f32 v129, v134, v135 op_sel:[0,0,1]           // 000000007ED8: D2A24081 00030F86
	v_cvt_pk_fp8_f32 v130, v136, v137                          // 000000007EE0: D2A20082 00031388
	v_cvt_pk_fp8_f32 v130, v138, v139 op_sel:[0,0,1]           // 000000007EE8: D2A24082 0003178A
	v_cvt_pk_fp8_f32 v131, v140, v141                          // 000000007EF0: D2A20083 00031B8C
	v_cvt_pk_fp8_f32 v131, v142, v143 op_sel:[0,0,1]           // 000000007EF8: D2A24083 00031F8E
	ds_write_b32 v13, v128 offset:25088                        // 000000007F00: D81A6200 0000800D
	ds_write_b32 v13, v129 offset:26112                        // 000000007F08: D81A6600 0000810D
	ds_write_b32 v13, v130 offset:27136                        // 000000007F10: D81A6A00 0000820D
	ds_write_b32 v13, v131 offset:28160                        // 000000007F18: D81A6E00 0000830D
	v_add_f32_e32 v224, v224, v192                             // 000000007F20: 03C181E0
	v_add_f32_e32 v225, v225, v193                             // 000000007F24: 03C383E1
	v_add_f32_e32 v226, v226, v194                             // 000000007F28: 03C585E2
	v_add_f32_e32 v227, v227, v195                             // 000000007F2C: 03C787E3
	v_add_f32_e32 v228, v228, v196                             // 000000007F30: 03C989E4
	v_add_f32_e32 v229, v229, v197                             // 000000007F34: 03CB8BE5
	v_add_f32_e32 v230, v230, v198                             // 000000007F38: 03CD8DE6
	v_add_f32_e32 v231, v231, v199                             // 000000007F3C: 03CF8FE7
	v_rcp_f32_e32 v58, v62                                     // 000000007F40: 7E74453E
	s_waitcnt lgkmcnt(0)                                       // 000000007F44: BF8CC07F
	s_barrier                                                  // 000000007F48: BF8A0000
	ds_read_b64 v[128:129], v12 offset:25088                   // 000000007F4C: D8EC6200 8000000C
	ds_read_b64 v[130:131], v12 offset:25216                   // 000000007F54: D8EC6280 8200000C
	ds_read_b64 v[132:133], v12 offset:26112                   // 000000007F5C: D8EC6600 8400000C
	ds_read_b64 v[134:135], v12 offset:26240                   // 000000007F64: D8EC6680 8600000C
	ds_read_b64 v[136:137], v12 offset:27136                   // 000000007F6C: D8EC6A00 8800000C
	ds_read_b64 v[138:139], v12 offset:27264                   // 000000007F74: D8EC6A80 8A00000C
	ds_read_b64 v[140:141], v12 offset:28160                   // 000000007F7C: D8EC6E00 8C00000C
	ds_read_b64 v[142:143], v12 offset:28288                   // 000000007F84: D8EC6E80 8E00000C
	s_waitcnt vmcnt(15)                                        // 000000007F8C: BF8C0F7F
	s_waitcnt lgkmcnt(7)                                       // 000000007F90: BF8CC77F
	v_mfma_f32_16x16x32_fp8_fp8 v[192:195], a[64:65], v[128:129], 0// 000000007F94: D3F300C0 0A030140
	buffer_load_dwordx4 a[112:115], v37, s[20:23], 0 offen offset:1024// 000000007F9C: E05C1400 80857025
	s_waitcnt lgkmcnt(6)                                       // 000000007FA4: BF8CC67F
	v_mfma_f32_16x16x32_fp8_fp8 v[192:195], a[66:67], v[130:131], v[192:195]// 000000007FA8: D3F300C0 0F030542
	s_waitcnt lgkmcnt(5)                                       // 000000007FB0: BF8CC57F
	v_mfma_f32_16x16x32_fp8_fp8 v[192:195], a[68:69], v[132:133], v[192:195]// 000000007FB4: D3F300C0 0F030944
	s_waitcnt lgkmcnt(4)                                       // 000000007FBC: BF8CC47F
	v_mfma_f32_16x16x32_fp8_fp8 v[192:195], a[70:71], v[134:135], v[192:195]// 000000007FC0: D3F300C0 0F030D46
	s_waitcnt lgkmcnt(3)                                       // 000000007FC8: BF8CC37F
	v_mfma_f32_16x16x32_fp8_fp8 v[192:195], a[72:73], v[136:137], v[192:195]// 000000007FCC: D3F300C0 0F031148
	buffer_load_dwordx4 a[116:119], v38, s[20:23], 0 offen offset:1024// 000000007FD4: E05C1400 80857426
	s_waitcnt lgkmcnt(2)                                       // 000000007FDC: BF8CC27F
	v_mfma_f32_16x16x32_fp8_fp8 v[192:195], a[74:75], v[138:139], v[192:195]// 000000007FE0: D3F300C0 0F03154A
	s_waitcnt lgkmcnt(1)                                       // 000000007FE8: BF8CC17F
	v_mfma_f32_16x16x32_fp8_fp8 v[192:195], a[76:77], v[140:141], v[192:195]// 000000007FEC: D3F300C0 0F03194C
	s_waitcnt lgkmcnt(0)                                       // 000000007FF4: BF8CC07F
	v_mfma_f32_16x16x32_fp8_fp8 v[192:195], a[78:79], v[142:143], v[192:195]// 000000007FF8: D3F300C0 0F031D4E
	v_mfma_f32_16x16x32_fp8_fp8 v[196:199], a[80:81], v[128:129], 0// 000000008000: D3F300C4 0A030150
	buffer_load_dwordx4 a[120:123], v39, s[20:23], 0 offen offset:1024// 000000008008: E05C1400 80857827
	v_mfma_f32_16x16x32_fp8_fp8 v[196:199], a[82:83], v[130:131], v[196:199]// 000000008010: D3F300C4 0F130552
	v_mfma_f32_16x16x32_fp8_fp8 v[196:199], a[84:85], v[132:133], v[196:199]// 000000008018: D3F300C4 0F130954
	v_mfma_f32_16x16x32_fp8_fp8 v[196:199], a[86:87], v[134:135], v[196:199]// 000000008020: D3F300C4 0F130D56
	v_mfma_f32_16x16x32_fp8_fp8 v[196:199], a[88:89], v[136:137], v[196:199]// 000000008028: D3F300C4 0F131158
	buffer_load_dwordx4 a[124:127], v40, s[20:23], 0 offen offset:1024// 000000008030: E05C1400 80857C28
	v_mfma_f32_16x16x32_fp8_fp8 v[196:199], a[90:91], v[138:139], v[196:199]// 000000008038: D3F300C4 0F13155A
	v_mfma_f32_16x16x32_fp8_fp8 v[196:199], a[92:93], v[140:141], v[196:199]// 000000008040: D3F300C4 0F13195C
	s_lshr_b32 s57, s70, 4                                     // 000000008048: 8F398446
	s_add_u32 s57, 48, s57                                     // 00000000804C: 803939B0
	v_mfma_f32_16x16x32_fp8_fp8 v[196:199], a[94:95], v[142:143], v[196:199]// 000000008050: D3F300C4 0F131D5E
	s_cmp_ge_u32 s57, s73                                      // 000000008058: BF094939
	s_cselect_b32 s56, 0, s56                                  // 00000000805C: 85383880
	v_add_u32_e32 v1, s56, v1                                  // 000000008060: 68020238
	s_addk_i32 s70, 0x100                                      // 000000008064: B7460100
	s_cmp_lt_i32 s70, s71                                      // 000000008068: BF044746
	s_cbranch_scc0 label_14D5                                  // 00000000806C: BF84FD39
	s_waitcnt vmcnt(8) lgkmcnt(0)                              // 000000008070: BF8C0078
	v_mul_u32_u24_dpp v41, v19, v68 row_newbcast:0 row_mask:0xf bank_mask:0xf// 000000008074: 105288FA FF015013
	v_mul_u32_u24_dpp v42, v19, v68 row_newbcast:4 row_mask:0xf bank_mask:0xf// 00000000807C: 105488FA FF015413
	v_mul_u32_u24_dpp v43, v19, v68 row_newbcast:8 row_mask:0xf bank_mask:0xf// 000000008084: 105688FA FF015813
	v_mul_u32_u24_dpp v44, v19, v68 row_newbcast:12 row_mask:0xf bank_mask:0xf// 00000000808C: 105888FA FF015C13
	v_add_u32_e32 v25, v41, v6                                 // 000000008094: 68320D29
	v_add_u32_e32 v26, v42, v6                                 // 000000008098: 68340D2A
	v_add_u32_e32 v27, v43, v6                                 // 00000000809C: 68360D2B
	v_add_u32_e32 v28, v44, v6                                 // 0000000080A0: 68380D2C
	v_mul_u32_u24_dpp v41, v19, v78 quad_perm:[0,0,0,0] row_mask:0xf bank_mask:0xf// 0000000080A4: 10529CFA FF000013
	v_add_u32_e32 v2, v41, v74                                 // 0000000080AC: 68049529
	v_mul_u32_u24_dpp v41, v19, v78 quad_perm:[0,0,0,0] row_mask:0xf bank_mask:0xf// 0000000080B0: 10529CFA FF000013
	v_add_u32_e32 v70, v41, v75                                // 0000000080B8: 688C9729
	v_mfma_f32_16x16x32_fp8_fp8 v[128:131], a[32:33], v[96:97], 0// 0000000080BC: D3F30080 0A02C120
	buffer_load_dwordx4 a[0:3], v25, s[16:19], 0 offen         // 0000000080C4: E05C1000 80840019
	v_mfma_f32_16x16x32_fp8_fp8 v[128:131], a[34:35], v[98:99], v[128:131]// 0000000080CC: D3F30080 0E02C522
	v_mfma_f32_16x16x32_fp8_fp8 v[128:131], a[36:37], v[100:101], v[128:131]// 0000000080D4: D3F30080 0E02C924
	buffer_load_dword v20, v1, s[24:27], 0 offen               // 0000000080DC: E0501000 80061401
	v_mfma_f32_16x16x32_fp8_fp8 v[128:131], a[38:39], v[102:103], v[128:131]// 0000000080E4: D3F30080 0E02CD26
	v_mfma_f32_16x16x32_fp8_fp8 v[132:135], a[40:41], v[96:97], 0// 0000000080EC: D3F30084 0A02C128
	buffer_load_dwordx4 a[4:7], v25, s[16:19], 0 offen offset:1024// 0000000080F4: E05C1400 80840419
	v_mfma_f32_16x16x32_fp8_fp8 v[132:135], a[42:43], v[98:99], v[132:135]// 0000000080FC: D3F30084 0E12C52A
	v_mfma_f32_16x16x32_fp8_fp8 v[132:135], a[44:45], v[100:101], v[132:135]// 000000008104: D3F30084 0E12C92C
	v_mfma_f32_16x16x32_fp8_fp8 v[132:135], a[46:47], v[102:103], v[132:135]// 00000000810C: D3F30084 0E12CD2E
	v_mfma_f32_16x16x32_fp8_fp8 v[136:139], a[48:49], v[96:97], 0// 000000008114: D3F30088 0A02C130
	buffer_load_dwordx4 a[8:11], v26, s[16:19], 0 offen        // 00000000811C: E05C1000 8084081A
	v_mfma_f32_16x16x32_fp8_fp8 v[136:139], a[50:51], v[98:99], v[136:139]// 000000008124: D3F30088 0E22C532
	v_mfma_f32_16x16x32_fp8_fp8 v[136:139], a[52:53], v[100:101], v[136:139]// 00000000812C: D3F30088 0E22C934
	v_mfma_f32_16x16x32_fp8_fp8 v[136:139], a[54:55], v[102:103], v[136:139]// 000000008134: D3F30088 0E22CD36
	v_mfma_f32_16x16x32_fp8_fp8 v[140:143], a[56:57], v[96:97], 0// 00000000813C: D3F3008C 0A02C138
	buffer_load_dwordx4 a[12:15], v26, s[16:19], 0 offen offset:1024// 000000008144: E05C1400 80840C1A
	v_mfma_f32_16x16x32_fp8_fp8 v[140:143], a[58:59], v[98:99], v[140:143]// 00000000814C: D3F3008C 0E32C53A
	v_mfma_f32_16x16x32_fp8_fp8 v[140:143], a[60:61], v[100:101], v[140:143]// 000000008154: D3F3008C 0E32C93C
	v_mfma_f32_16x16x32_fp8_fp8 v[140:143], a[62:63], v[102:103], v[140:143]// 00000000815C: D3F3008C 0E32CD3E
	buffer_load_dword v52, v2, s[32:35], 0 offen               // 000000008164: E0501000 80083402
	v_mov_b32_dpp v41, v53 row_shr:4 row_mask:0xf bank_mask:0xf// 00000000816C: 7E5202FA FF011435
	v_mov_b32_dpp v42, v53 row_shl:4 row_mask:0xf bank_mask:0xf// 000000008174: 7E5402FA FF010435
	v_cndmask_b32_e64 v248, v53, v41, s[44:45]                 // 00000000817C: D10000F8 00B25335
	v_cndmask_b32_e64 v249, v42, v53, s[44:45]                 // 000000008184: D10000F9 00B26B2A
	v_mov_b32_dpp v41, v248 row_shr:8 row_mask:0xf bank_mask:0xf// 00000000818C: 7E5202FA FF0118F8
	v_mov_b32_dpp v42, v248 row_shl:8 row_mask:0xf bank_mask:0xf// 000000008194: 7E5402FA FF0108F8
	v_mov_b32_dpp v43, v249 row_shr:8 row_mask:0xf bank_mask:0xf// 00000000819C: 7E5602FA FF0118F9
	v_mov_b32_dpp v44, v249 row_shl:8 row_mask:0xf bank_mask:0xf// 0000000081A4: 7E5802FA FF0108F9
	v_mov_b32_e32 v45, v248                                    // 0000000081AC: 7E5A03F8
	v_mov_b32_e32 v46, v249                                    // 0000000081B0: 7E5C03F9
	v_cndmask_b32_e64 v248, v45, v41, s[42:43]                 // 0000000081B4: D10000F8 00AA532D
	v_cndmask_b32_e64 v250, v45, v42, s[78:79]                 // 0000000081BC: D10000FA 013A552D
	v_cndmask_b32_e64 v249, v46, v43, s[42:43]                 // 0000000081C4: D10000F9 00AA572E
	v_cndmask_b32_e64 v251, v46, v44, s[78:79]                 // 0000000081CC: D10000FB 013A592E
	v_mov_b32_dpp v41, v73 row_shr:4 row_mask:0xf bank_mask:0xf// 0000000081D4: 7E5202FA FF011449
	v_mov_b32_dpp v42, v73 row_shl:4 row_mask:0xf bank_mask:0xf// 0000000081DC: 7E5402FA FF010449
	v_cndmask_b32_e64 v252, v73, v41, s[44:45]                 // 0000000081E4: D10000FC 00B25349
	v_cndmask_b32_e64 v253, v42, v73, s[44:45]                 // 0000000081EC: D10000FD 00B2932A
	v_mov_b32_dpp v41, v252 row_shr:8 row_mask:0xf bank_mask:0xf// 0000000081F4: 7E5202FA FF0118FC
	v_mov_b32_dpp v42, v252 row_shl:8 row_mask:0xf bank_mask:0xf// 0000000081FC: 7E5402FA FF0108FC
	v_mov_b32_dpp v43, v253 row_shr:8 row_mask:0xf bank_mask:0xf// 000000008204: 7E5602FA FF0118FD
	v_mov_b32_dpp v44, v253 row_shl:8 row_mask:0xf bank_mask:0xf// 00000000820C: 7E5802FA FF0108FD
	v_mov_b32_e32 v45, v252                                    // 000000008214: 7E5A03FC
	v_mov_b32_e32 v46, v253                                    // 000000008218: 7E5C03FD
	v_cndmask_b32_e64 v252, v45, v41, s[42:43]                 // 00000000821C: D10000FC 00AA532D
	v_cndmask_b32_e64 v254, v45, v42, s[78:79]                 // 000000008224: D10000FE 013A552D
	v_cndmask_b32_e64 v253, v46, v43, s[42:43]                 // 00000000822C: D10000FD 00AA572E
	v_cndmask_b32_e64 v255, v46, v44, s[78:79]                 // 000000008234: D10000FF 013A592E
	buffer_load_dword v72, v70, s[36:39], 0 offen              // 00000000823C: E0501000 80094846
	v_mul_f32_e32 v128, v54, v128                              // 000000008244: 0B010136
	v_mul_f32_e32 v129, v54, v129                              // 000000008248: 0B030336
	v_mul_f32_e32 v130, v54, v130                              // 00000000824C: 0B050536
	v_mul_f32_e32 v131, v54, v131                              // 000000008250: 0B070736
	v_mul_f32_e32 v132, v54, v132                              // 000000008254: 0B090936
	v_mul_f32_e32 v133, v54, v133                              // 000000008258: 0B0B0B36
	v_mul_f32_e32 v134, v54, v134                              // 00000000825C: 0B0D0D36
	v_mul_f32_e32 v135, v54, v135                              // 000000008260: 0B0F0F36
	v_mul_f32_e32 v136, v54, v136                              // 000000008264: 0B111136
	v_mul_f32_e32 v137, v54, v137                              // 000000008268: 0B131336
	v_mul_f32_e32 v138, v54, v138                              // 00000000826C: 0B151536
	v_mul_f32_e32 v139, v54, v139                              // 000000008270: 0B171736
	v_mul_f32_e32 v140, v54, v140                              // 000000008274: 0B191936
	v_mul_f32_e32 v141, v54, v141                              // 000000008278: 0B1B1B36
	v_mul_f32_e32 v142, v54, v142                              // 00000000827C: 0B1D1D36
	v_mul_f32_e32 v143, v54, v143                              // 000000008280: 0B1F1F36
	buffer_load_dwordx4 a[16:19], v27, s[16:19], 0 offen       // 000000008284: E05C1000 8084101B
	v_mul_f32_dpp v128, v248, v128 quad_perm:[0,0,0,0] row_mask:0xf bank_mask:0xf// 00000000828C: 0B0100FA FF0000F8
	v_mul_f32_dpp v129, v248, v129 quad_perm:[1,1,1,1] row_mask:0xf bank_mask:0xf// 000000008294: 0B0302FA FF0055F8
	v_mul_f32_dpp v130, v248, v130 quad_perm:[2,2,2,2] row_mask:0xf bank_mask:0xf// 00000000829C: 0B0504FA FF00AAF8
	v_mul_f32_dpp v131, v248, v131 quad_perm:[3,3,3,3] row_mask:0xf bank_mask:0xf// 0000000082A4: 0B0706FA FF00FFF8
	v_mul_f32_dpp v132, v249, v132 quad_perm:[0,0,0,0] row_mask:0xf bank_mask:0xf// 0000000082AC: 0B0908FA FF0000F9
	v_mul_f32_dpp v133, v249, v133 quad_perm:[1,1,1,1] row_mask:0xf bank_mask:0xf// 0000000082B4: 0B0B0AFA FF0055F9
	v_mul_f32_dpp v134, v249, v134 quad_perm:[2,2,2,2] row_mask:0xf bank_mask:0xf// 0000000082BC: 0B0D0CFA FF00AAF9
	v_mul_f32_dpp v135, v249, v135 quad_perm:[3,3,3,3] row_mask:0xf bank_mask:0xf// 0000000082C4: 0B0F0EFA FF00FFF9
	v_mul_f32_dpp v136, v250, v136 quad_perm:[0,0,0,0] row_mask:0xf bank_mask:0xf// 0000000082CC: 0B1110FA FF0000FA
	v_mul_f32_dpp v137, v250, v137 quad_perm:[1,1,1,1] row_mask:0xf bank_mask:0xf// 0000000082D4: 0B1312FA FF0055FA
	v_mul_f32_dpp v138, v250, v138 quad_perm:[2,2,2,2] row_mask:0xf bank_mask:0xf// 0000000082DC: 0B1514FA FF00AAFA
	v_mul_f32_dpp v139, v250, v139 quad_perm:[3,3,3,3] row_mask:0xf bank_mask:0xf// 0000000082E4: 0B1716FA FF00FFFA
	v_mul_f32_dpp v140, v251, v140 quad_perm:[0,0,0,0] row_mask:0xf bank_mask:0xf// 0000000082EC: 0B1918FA FF0000FB
	v_mul_f32_dpp v141, v251, v141 quad_perm:[1,1,1,1] row_mask:0xf bank_mask:0xf// 0000000082F4: 0B1B1AFA FF0055FB
	v_mul_f32_dpp v142, v251, v142 quad_perm:[2,2,2,2] row_mask:0xf bank_mask:0xf// 0000000082FC: 0B1D1CFA FF00AAFB
	v_mul_f32_dpp v143, v251, v143 quad_perm:[3,3,3,3] row_mask:0xf bank_mask:0xf// 000000008304: 0B1F1EFA FF00FFFB
	buffer_load_dwordx4 a[20:23], v27, s[16:19], 0 offen offset:1024// 00000000830C: E05C1400 8084141B
	s_cmp_le_i32 s90, s89                                      // 000000008314: BF05595A
	s_cbranch_scc1 label_18BA                                  // 000000008318: BF850073
	v_mov_b32_e32 v69, 0xff800000                              // 00000000831C: 7E8A02FF FF800000
	s_mov_b32 s60, s90                                         // 000000008324: BEBC005A
	s_add_u32 s61, s89, 0xff                                   // 000000008328: 803DFF59 000000FF
	v_mov_b32_e32 v41, s61                                     // 000000008330: 7E52023D
	v_lshrrev_b32_e32 v240, 4, v0                              // 000000008334: 21E00084
	v_mul_i32_i24_e32 v240, 4, v240                            // 000000008338: 0DE1E084
	v_add_u32_e32 v240, s60, v240                              // 00000000833C: 69E1E03C
	v_and_b32_e32 v42, 15, v0                                  // 000000008340: 2654008F
	v_lshrrev_b32_e32 v42, 3, v42                              // 000000008344: 20545483
	s_mov_b32 s61, 0                                           // 000000008348: BEBD0080
	s_mul_i32 s60, 16, s7                                      // 00000000834C: 923C0790
	v_add_u32_e32 v42, s61, v42                                // 000000008350: 6854543D
	v_sub_u32_e32 v240, v240, v42                              // 000000008354: 6BE055F0
	v_add_u32_e32 v240, s60, v240                              // 000000008358: 69E1E03C
	v_add_u32_e32 v241, 1, v240                                // 00000000835C: 69E3E081
	v_add_u32_e32 v242, 2, v240                                // 000000008360: 69E5E082
	v_add_u32_e32 v243, 3, v240                                // 000000008364: 69E7E083
	v_cmp_le_u32_e64 s[40:41], v240, v41                       // 000000008368: D0CB0028 000253F0
	v_add_u32_e32 v240, 64, v240                               // 000000008370: 69E1E0C0
	s_nop 0                                                    // 000000008374: BF800000
	v_cndmask_b32_e64 v128, v69, v128, s[40:41]                // 000000008378: D1000080 00A30145
	v_cmp_le_u32_e64 s[40:41], v241, v41                       // 000000008380: D0CB0028 000253F1
	v_add_u32_e32 v241, 64, v241                               // 000000008388: 69E3E2C0
	s_nop 0                                                    // 00000000838C: BF800000
	v_cndmask_b32_e64 v129, v69, v129, s[40:41]                // 000000008390: D1000081 00A30345
	v_cmp_le_u32_e64 s[40:41], v242, v41                       // 000000008398: D0CB0028 000253F2
	v_add_u32_e32 v242, 64, v242                               // 0000000083A0: 69E5E4C0
	s_nop 0                                                    // 0000000083A4: BF800000
	v_cndmask_b32_e64 v130, v69, v130, s[40:41]                // 0000000083A8: D1000082 00A30545
	v_cmp_le_u32_e64 s[40:41], v243, v41                       // 0000000083B0: D0CB0028 000253F3
	v_add_u32_e32 v243, 64, v243                               // 0000000083B8: 69E7E6C0
	s_nop 0                                                    // 0000000083BC: BF800000
	v_cndmask_b32_e64 v131, v69, v131, s[40:41]                // 0000000083C0: D1000083 00A30745
	v_cmp_le_u32_e64 s[40:41], v240, v41                       // 0000000083C8: D0CB0028 000253F0
	v_add_u32_e32 v240, 64, v240                               // 0000000083D0: 69E1E0C0
	s_nop 0                                                    // 0000000083D4: BF800000
	v_cndmask_b32_e64 v132, v69, v132, s[40:41]                // 0000000083D8: D1000084 00A30945
	v_cmp_le_u32_e64 s[40:41], v241, v41                       // 0000000083E0: D0CB0028 000253F1
	v_add_u32_e32 v241, 64, v241                               // 0000000083E8: 69E3E2C0
	s_nop 0                                                    // 0000000083EC: BF800000
	v_cndmask_b32_e64 v133, v69, v133, s[40:41]                // 0000000083F0: D1000085 00A30B45
	v_cmp_le_u32_e64 s[40:41], v242, v41                       // 0000000083F8: D0CB0028 000253F2
	v_add_u32_e32 v242, 64, v242                               // 000000008400: 69E5E4C0
	s_nop 0                                                    // 000000008404: BF800000
	v_cndmask_b32_e64 v134, v69, v134, s[40:41]                // 000000008408: D1000086 00A30D45
	v_cmp_le_u32_e64 s[40:41], v243, v41                       // 000000008410: D0CB0028 000253F3
	v_add_u32_e32 v243, 64, v243                               // 000000008418: 69E7E6C0
	s_nop 0                                                    // 00000000841C: BF800000
	v_cndmask_b32_e64 v135, v69, v135, s[40:41]                // 000000008420: D1000087 00A30F45
	v_cmp_le_u32_e64 s[40:41], v240, v41                       // 000000008428: D0CB0028 000253F0
	v_add_u32_e32 v240, 64, v240                               // 000000008430: 69E1E0C0
	s_nop 0                                                    // 000000008434: BF800000
	v_cndmask_b32_e64 v136, v69, v136, s[40:41]                // 000000008438: D1000088 00A31145
	v_cmp_le_u32_e64 s[40:41], v241, v41                       // 000000008440: D0CB0028 000253F1
	v_add_u32_e32 v241, 64, v241                               // 000000008448: 69E3E2C0
	s_nop 0                                                    // 00000000844C: BF800000
	v_cndmask_b32_e64 v137, v69, v137, s[40:41]                // 000000008450: D1000089 00A31345
	v_cmp_le_u32_e64 s[40:41], v242, v41                       // 000000008458: D0CB0028 000253F2
	v_add_u32_e32 v242, 64, v242                               // 000000008460: 69E5E4C0
	s_nop 0                                                    // 000000008464: BF800000
	v_cndmask_b32_e64 v138, v69, v138, s[40:41]                // 000000008468: D100008A 00A31545
	v_cmp_le_u32_e64 s[40:41], v243, v41                       // 000000008470: D0CB0028 000253F3
	v_add_u32_e32 v243, 64, v243                               // 000000008478: 69E7E6C0
	s_nop 0                                                    // 00000000847C: BF800000
	v_cndmask_b32_e64 v139, v69, v139, s[40:41]                // 000000008480: D100008B 00A31745
	v_cmp_le_u32_e64 s[40:41], v240, v41                       // 000000008488: D0CB0028 000253F0
	v_add_u32_e32 v240, 64, v240                               // 000000008490: 69E1E0C0
	s_nop 0                                                    // 000000008494: BF800000
	v_cndmask_b32_e64 v140, v69, v140, s[40:41]                // 000000008498: D100008C 00A31945
	v_cmp_le_u32_e64 s[40:41], v241, v41                       // 0000000084A0: D0CB0028 000253F1
	v_add_u32_e32 v241, 64, v241                               // 0000000084A8: 69E3E2C0
	s_nop 0                                                    // 0000000084AC: BF800000
	v_cndmask_b32_e64 v141, v69, v141, s[40:41]                // 0000000084B0: D100008D 00A31B45
	v_cmp_le_u32_e64 s[40:41], v242, v41                       // 0000000084B8: D0CB0028 000253F2
	v_add_u32_e32 v242, 64, v242                               // 0000000084C0: 69E5E4C0
	s_nop 0                                                    // 0000000084C4: BF800000
	v_cndmask_b32_e64 v142, v69, v142, s[40:41]                // 0000000084C8: D100008E 00A31D45
	v_cmp_le_u32_e64 s[40:41], v243, v41                       // 0000000084D0: D0CB0028 000253F3
	v_add_u32_e32 v243, 64, v243                               // 0000000084D8: 69E7E6C0
	s_nop 0                                                    // 0000000084DC: BF800000
	v_cndmask_b32_e64 v143, v69, v143, s[40:41]                // 0000000084E0: D100008F 00A31F45

00000000000084e8 <label_18BA>:
	s_add_u32 s90, s91, s90                                    // 0000000084E8: 805A5A5B
	v_mov_b32_e32 v62, v128                                    // 0000000084EC: 7E7C0380
	v_max3_f32 v62, v128, v129, v62                            // 0000000084F0: D1D3003E 04FB0380
	v_max3_f32 v62, v130, v131, v62                            // 0000000084F8: D1D3003E 04FB0782
	v_max3_f32 v62, v132, v133, v62                            // 000000008500: D1D3003E 04FB0B84
	v_max3_f32 v62, v134, v135, v62                            // 000000008508: D1D3003E 04FB0F86
	v_max3_f32 v62, v136, v137, v62                            // 000000008510: D1D3003E 04FB1388
	v_max3_f32 v62, v138, v139, v62                            // 000000008518: D1D3003E 04FB178A
	v_max3_f32 v62, v140, v141, v62                            // 000000008520: D1D3003E 04FB1B8C
	v_max3_f32 v62, v142, v143, v62                            // 000000008528: D1D3003E 04FB1F8E
	ds_write_b32 v11, v62 offset:16896                         // 000000008530: D81A4200 00003E0B
	buffer_load_dwordx4 a[24:27], v28, s[16:19], 0 offen       // 000000008538: E05C1000 8084181C
	v_mul_u32_u24_dpp v41, v19, v68 row_newbcast:1 row_mask:0xf bank_mask:0xf// 000000008540: 105288FA FF015113
	v_mul_u32_u24_dpp v42, v19, v68 row_newbcast:5 row_mask:0xf bank_mask:0xf// 000000008548: 105488FA FF015513
	v_mul_u32_u24_dpp v43, v19, v68 row_newbcast:9 row_mask:0xf bank_mask:0xf// 000000008550: 105688FA FF015913
	v_mul_u32_u24_dpp v44, v19, v68 row_newbcast:13 row_mask:0xf bank_mask:0xf// 000000008558: 105888FA FF015D13
	v_add_u32_e32 v33, v41, v7                                 // 000000008560: 68420F29
	v_add_u32_e32 v34, v42, v7                                 // 000000008564: 68440F2A
	v_add_u32_e32 v35, v43, v7                                 // 000000008568: 68460F2B
	v_add_u32_e32 v36, v44, v7                                 // 00000000856C: 68480F2C
	v_mul_f32_e32 v224, v63, v224                              // 000000008570: 0BC1C13F
	v_mul_f32_e32 v225, v63, v225                              // 000000008574: 0BC3C33F
	v_mul_f32_e32 v226, v63, v226                              // 000000008578: 0BC5C53F
	v_mul_f32_e32 v227, v63, v227                              // 00000000857C: 0BC7C73F
	v_mul_f32_e32 v228, v63, v228                              // 000000008580: 0BC9C93F
	v_mul_f32_e32 v229, v63, v229                              // 000000008584: 0BCBCB3F
	v_mul_f32_e32 v230, v63, v230                              // 000000008588: 0BCDCD3F
	v_mul_f32_e32 v231, v63, v231                              // 00000000858C: 0BCFCF3F
	s_waitcnt lgkmcnt(0)                                       // 000000008590: BF8CC07F
	s_barrier                                                  // 000000008594: BF8A0000
	ds_read_b32 v80, v10 offset:16896                          // 000000008598: D86C4200 5000000A
	ds_read_b32 v81, v10 offset:16960                          // 0000000085A0: D86C4240 5100000A
	ds_read_b32 v82, v10 offset:17024                          // 0000000085A8: D86C4280 5200000A
	ds_read_b32 v83, v10 offset:17088                          // 0000000085B0: D86C42C0 5300000A
	ds_read_b32 v84, v10 offset:17152                          // 0000000085B8: D86C4300 5400000A
	ds_read_b32 v85, v10 offset:17216                          // 0000000085C0: D86C4340 5500000A
	ds_read_b32 v86, v10 offset:17280                          // 0000000085C8: D86C4380 5600000A
	ds_read_b32 v87, v10 offset:17344                          // 0000000085D0: D86C43C0 5700000A
	ds_read_b32 v88, v10 offset:17408                          // 0000000085D8: D86C4400 5800000A
	ds_read_b32 v89, v10 offset:17472                          // 0000000085E0: D86C4440 5900000A
	ds_read_b32 v90, v10 offset:17536                          // 0000000085E8: D86C4480 5A00000A
	ds_read_b32 v91, v10 offset:17600                          // 0000000085F0: D86C44C0 5B00000A
	ds_read_b32 v92, v10 offset:17664                          // 0000000085F8: D86C4500 5C00000A
	ds_read_b32 v93, v10 offset:17728                          // 000000008600: D86C4540 5D00000A
	ds_read_b32 v94, v10 offset:17792                          // 000000008608: D86C4580 5E00000A
	ds_read_b32 v95, v10 offset:17856                          // 000000008610: D86C45C0 5F00000A
	buffer_load_dwordx4 a[28:31], v28, s[16:19], 0 offen offset:1024// 000000008618: E05C1400 80841C1C
	v_mul_f32_e32 v192, v58, v192                              // 000000008620: 0B81813A
	v_mul_f32_e32 v193, v58, v193                              // 000000008624: 0B83833A
	v_mul_f32_e32 v194, v58, v194                              // 000000008628: 0B85853A
	v_mul_f32_e32 v195, v58, v195                              // 00000000862C: 0B87873A
	v_mul_f32_e32 v196, v58, v196                              // 000000008630: 0B89893A
	v_mul_f32_e32 v197, v58, v197                              // 000000008634: 0B8B8B3A
	v_mul_f32_e32 v198, v58, v198                              // 000000008638: 0B8D8D3A
	v_mul_f32_e32 v199, v58, v199                              // 00000000863C: 0B8F8F3A
	s_waitcnt lgkmcnt(0)                                       // 000000008640: BF8CC07F
	v_max3_f32 v62, v80, v81, v62                              // 000000008644: D1D3003E 04FAA350
	v_max3_f32 v62, v82, v83, v62                              // 00000000864C: D1D3003E 04FAA752
	v_max3_f32 v62, v84, v85, v62                              // 000000008654: D1D3003E 04FAAB54
	v_max3_f32 v62, v86, v87, v62                              // 00000000865C: D1D3003E 04FAAF56
	v_max3_f32 v62, v88, v89, v62                              // 000000008664: D1D3003E 04FAB358
	v_max3_f32 v62, v90, v91, v62                              // 00000000866C: D1D3003E 04FAB75A
	v_max3_f32 v62, v92, v93, v62                              // 000000008674: D1D3003E 04FABB5C
	v_max3_f32 v62, v94, v95, v62                              // 00000000867C: D1D3003E 04FABF5E
	buffer_load_dwordx4 a[64:67], v33, s[20:23], 0 offen       // 000000008684: E05C1000 80854021
	v_mov_b32_e32 v41, 0xff800000                              // 00000000868C: 7E5202FF FF800000
	v_cmp_eq_u32_e64 s[40:41], v41, v14                        // 000000008694: D0CA0028 00021D29
	s_nop 1                                                    // 00000000869C: BF800001
	v_max_f32_e32 v18, v62, v14                                // 0000000086A0: 16241D3E
	v_mul_f32_e32 v67, s64, v18                                // 0000000086A4: 0A862440
	v_fma_f32 v128, v128, s64, -v67                            // 0000000086A8: D1CB0080 850C8180
	v_fma_f32 v129, v129, s64, -v67                            // 0000000086B0: D1CB0081 850C8181
	v_fma_f32 v130, v130, s64, -v67                            // 0000000086B8: D1CB0082 850C8182
	v_fma_f32 v131, v131, s64, -v67                            // 0000000086C0: D1CB0083 850C8183
	v_fma_f32 v132, v132, s64, -v67                            // 0000000086C8: D1CB0084 850C8184
	v_fma_f32 v133, v133, s64, -v67                            // 0000000086D0: D1CB0085 850C8185
	v_fma_f32 v134, v134, s64, -v67                            // 0000000086D8: D1CB0086 850C8186
	v_fma_f32 v135, v135, s64, -v67                            // 0000000086E0: D1CB0087 850C8187
	v_fma_f32 v136, v136, s64, -v67                            // 0000000086E8: D1CB0088 850C8188
	v_fma_f32 v137, v137, s64, -v67                            // 0000000086F0: D1CB0089 850C8189
	v_fma_f32 v138, v138, s64, -v67                            // 0000000086F8: D1CB008A 850C818A
	v_fma_f32 v139, v139, s64, -v67                            // 000000008700: D1CB008B 850C818B
	v_fma_f32 v140, v140, s64, -v67                            // 000000008708: D1CB008C 850C818C
	v_fma_f32 v141, v141, s64, -v67                            // 000000008710: D1CB008D 850C818D
	v_fma_f32 v142, v142, s64, -v67                            // 000000008718: D1CB008E 850C818E
	v_fma_f32 v143, v143, s64, -v67                            // 000000008720: D1CB008F 850C818F
	buffer_load_dwordx4 a[68:71], v34, s[20:23], 0 offen       // 000000008728: E05C1000 80854422
	v_exp_f32_e32 v128, v128                                   // 000000008730: 7F004180
	v_exp_f32_e32 v129, v129                                   // 000000008734: 7F024181
	v_exp_f32_e32 v130, v130                                   // 000000008738: 7F044182
	v_exp_f32_e32 v131, v131                                   // 00000000873C: 7F064183
	v_exp_f32_e32 v132, v132                                   // 000000008740: 7F084184
	v_exp_f32_e32 v133, v133                                   // 000000008744: 7F0A4185
	v_exp_f32_e32 v134, v134                                   // 000000008748: 7F0C4186
	v_exp_f32_e32 v135, v135                                   // 00000000874C: 7F0E4187
	v_exp_f32_e32 v136, v136                                   // 000000008750: 7F104188
	v_exp_f32_e32 v137, v137                                   // 000000008754: 7F124189
	v_exp_f32_e32 v138, v138                                   // 000000008758: 7F14418A
	v_exp_f32_e32 v139, v139                                   // 00000000875C: 7F16418B
	v_exp_f32_e32 v140, v140                                   // 000000008760: 7F18418C
	v_exp_f32_e32 v141, v141                                   // 000000008764: 7F1A418D
	v_exp_f32_e32 v142, v142                                   // 000000008768: 7F1C418E
	v_exp_f32_e32 v143, v143                                   // 00000000876C: 7F1E418F
	buffer_load_dwordx4 a[72:75], v35, s[20:23], 0 offen       // 000000008770: E05C1000 80854823
	v_mul_f32_dpp v240, v252, v128 quad_perm:[0,0,0,0] row_mask:0xf bank_mask:0xf// 000000008778: 0BE100FA FF0000FC
	v_mul_f32_dpp v241, v252, v129 quad_perm:[1,1,1,1] row_mask:0xf bank_mask:0xf// 000000008780: 0BE302FA FF0055FC
	v_mul_f32_dpp v242, v252, v130 quad_perm:[2,2,2,2] row_mask:0xf bank_mask:0xf// 000000008788: 0BE504FA FF00AAFC
	v_mul_f32_dpp v243, v252, v131 quad_perm:[3,3,3,3] row_mask:0xf bank_mask:0xf// 000000008790: 0BE706FA FF00FFFC
	v_mul_f32_dpp v244, v253, v132 quad_perm:[0,0,0,0] row_mask:0xf bank_mask:0xf// 000000008798: 0BE908FA FF0000FD
	v_mul_f32_dpp v245, v253, v133 quad_perm:[1,1,1,1] row_mask:0xf bank_mask:0xf// 0000000087A0: 0BEB0AFA FF0055FD
	v_mul_f32_dpp v246, v253, v134 quad_perm:[2,2,2,2] row_mask:0xf bank_mask:0xf// 0000000087A8: 0BED0CFA FF00AAFD
	v_mul_f32_dpp v247, v253, v135 quad_perm:[3,3,3,3] row_mask:0xf bank_mask:0xf// 0000000087B0: 0BEF0EFA FF00FFFD
	v_mul_f32_dpp v248, v254, v136 quad_perm:[0,0,0,0] row_mask:0xf bank_mask:0xf// 0000000087B8: 0BF110FA FF0000FE
	v_mul_f32_dpp v249, v254, v137 quad_perm:[1,1,1,1] row_mask:0xf bank_mask:0xf// 0000000087C0: 0BF312FA FF0055FE
	v_mul_f32_dpp v250, v254, v138 quad_perm:[2,2,2,2] row_mask:0xf bank_mask:0xf// 0000000087C8: 0BF514FA FF00AAFE
	v_mul_f32_dpp v251, v254, v139 quad_perm:[3,3,3,3] row_mask:0xf bank_mask:0xf// 0000000087D0: 0BF716FA FF00FFFE
	v_mul_f32_dpp v252, v255, v140 quad_perm:[0,0,0,0] row_mask:0xf bank_mask:0xf// 0000000087D8: 0BF918FA FF0000FF
	v_mul_f32_dpp v253, v255, v141 quad_perm:[1,1,1,1] row_mask:0xf bank_mask:0xf// 0000000087E0: 0BFB1AFA FF0055FF
	v_mul_f32_dpp v254, v255, v142 quad_perm:[2,2,2,2] row_mask:0xf bank_mask:0xf// 0000000087E8: 0BFD1CFA FF00AAFF
	v_mul_f32_dpp v255, v255, v143 quad_perm:[3,3,3,3] row_mask:0xf bank_mask:0xf// 0000000087F0: 0BFF1EFA FF00FFFF
	v_mov_b32_e32 v62, 0x358637bd                              // 0000000087F8: 7E7C02FF 358637BD
	v_max3_f32 v62, |v240|, |v241|, v62                        // 000000008800: D1D3033E 04FBE3F0
	v_max3_f32 v62, |v242|, |v243|, v62                        // 000000008808: D1D3033E 04FBE7F2
	v_max3_f32 v62, |v244|, |v245|, v62                        // 000000008810: D1D3033E 04FBEBF4
	v_max3_f32 v62, |v246|, |v247|, v62                        // 000000008818: D1D3033E 04FBEFF6
	v_max3_f32 v62, |v248|, |v249|, v62                        // 000000008820: D1D3033E 04FBF3F8
	v_max3_f32 v62, |v250|, |v251|, v62                        // 000000008828: D1D3033E 04FBF7FA
	v_max3_f32 v62, |v252|, |v253|, v62                        // 000000008830: D1D3033E 04FBFBFC
	v_max3_f32 v62, |v254|, |v255|, v62                        // 000000008838: D1D3033E 04FBFFFE
	buffer_load_dwordx4 a[76:79], v36, s[20:23], 0 offen       // 000000008840: E05C1000 80854C24
	ds_write_b32 v11, v62 offset:20992                         // 000000008848: D81A5200 00003E0B
	v_sub_f32_e32 v63, v14, v18                                // 000000008850: 047E250E
	v_cndmask_b32_e64 v63, v63, 0, s[40:41]                    // 000000008854: D100003F 00A1013F
	v_mov_b32_e32 v14, v18                                     // 00000000885C: 7E1C0312
	v_mul_f32_e32 v63, s64, v63                                // 000000008860: 0A7E7E40
	v_exp_f32_e32 v63, v63                                     // 000000008864: 7E7E413F
	s_waitcnt lgkmcnt(0)                                       // 000000008868: BF8CC07F
	s_barrier                                                  // 00000000886C: BF8A0000
	ds_read_b32 v80, v10 offset:20992                          // 000000008870: D86C5200 5000000A
	ds_read_b32 v81, v10 offset:21056                          // 000000008878: D86C5240 5100000A
	ds_read_b32 v82, v10 offset:21120                          // 000000008880: D86C5280 5200000A
	ds_read_b32 v83, v10 offset:21184                          // 000000008888: D86C52C0 5300000A
	ds_read_b32 v84, v10 offset:21248                          // 000000008890: D86C5300 5400000A
	ds_read_b32 v85, v10 offset:21312                          // 000000008898: D86C5340 5500000A
	ds_read_b32 v86, v10 offset:21376                          // 0000000088A0: D86C5380 5600000A
	ds_read_b32 v87, v10 offset:21440                          // 0000000088A8: D86C53C0 5700000A
	ds_read_b32 v88, v10 offset:21504                          // 0000000088B0: D86C5400 5800000A
	ds_read_b32 v89, v10 offset:21568                          // 0000000088B8: D86C5440 5900000A
	ds_read_b32 v90, v10 offset:21632                          // 0000000088C0: D86C5480 5A00000A
	ds_read_b32 v91, v10 offset:21696                          // 0000000088C8: D86C54C0 5B00000A
	ds_read_b32 v92, v10 offset:21760                          // 0000000088D0: D86C5500 5C00000A
	ds_read_b32 v93, v10 offset:21824                          // 0000000088D8: D86C5540 5D00000A
	ds_read_b32 v94, v10 offset:21888                          // 0000000088E0: D86C5580 5E00000A
	ds_read_b32 v95, v10 offset:21952                          // 0000000088E8: D86C55C0 5F00000A
	v_mul_f32_e32 v47, v63, v47                                // 0000000088F0: 0A5E5F3F
	v_mov_b32_e32 v18, v128                                    // 0000000088F4: 7E240380
	v_add_f32_e32 v18, v129, v18                               // 0000000088F8: 02242581
	v_add_f32_e32 v18, v130, v18                               // 0000000088FC: 02242582
	v_add_f32_e32 v18, v131, v18                               // 000000008900: 02242583
	v_add_f32_e32 v18, v132, v18                               // 000000008904: 02242584
	;; [unrolled: 1-line block ×3, first 2 shown]
	v_add_f32_e32 v18, v134, v18                               // 00000000890C: 02242586
	v_add_f32_e32 v18, v135, v18                               // 000000008910: 02242587
	v_add_f32_e32 v18, v136, v18                               // 000000008914: 02242588
	;; [unrolled: 1-line block ×3, first 2 shown]
	v_add_f32_e32 v18, v138, v18                               // 00000000891C: 0224258A
	v_add_f32_e32 v18, v139, v18                               // 000000008920: 0224258B
	v_add_f32_e32 v18, v140, v18                               // 000000008924: 0224258C
	v_add_f32_e32 v18, v141, v18                               // 000000008928: 0224258D
	v_add_f32_e32 v18, v142, v18                               // 00000000892C: 0224258E
	v_add_f32_e32 v18, v143, v18                               // 000000008930: 0224258F
	v_add_f32_e32 v47, v18, v47                                // 000000008934: 025E5F12
	s_waitcnt lgkmcnt(0)                                       // 000000008938: BF8CC07F
	v_max3_f32 v62, |v80|, |v81|, v62                          // 00000000893C: D1D3033E 04FAA350
	v_max3_f32 v62, |v82|, |v83|, v62                          // 000000008944: D1D3033E 04FAA752
	v_max3_f32 v62, |v84|, |v85|, v62                          // 00000000894C: D1D3033E 04FAAB54
	v_max3_f32 v62, |v86|, |v87|, v62                          // 000000008954: D1D3033E 04FAAF56
	v_max3_f32 v62, |v88|, |v89|, v62                          // 00000000895C: D1D3033E 04FAB358
	v_max3_f32 v62, |v90|, |v91|, v62                          // 000000008964: D1D3033E 04FAB75A
	v_max3_f32 v62, |v92|, |v93|, v62                          // 00000000896C: D1D3033E 04FABB5C
	v_max3_f32 v62, |v94|, |v95|, v62                          // 000000008974: D1D3033E 04FABF5E
	s_nop 2                                                    // 00000000897C: BF800002
	v_rcp_f32_e32 v62, v62                                     // 000000008980: 7E7C453E
	s_nop 1                                                    // 000000008984: BF800001
	v_mul_f32_e32 v62, 0x43e00000, v62                         // 000000008988: 0A7C7CFF 43E00000
	v_mul_f32_e32 v128, v62, v240                              // 000000008990: 0B01E13E
	v_mul_f32_e32 v129, v62, v241                              // 000000008994: 0B03E33E
	v_mul_f32_e32 v130, v62, v242                              // 000000008998: 0B05E53E
	v_mul_f32_e32 v131, v62, v243                              // 00000000899C: 0B07E73E
	v_mul_f32_e32 v132, v62, v244                              // 0000000089A0: 0B09E93E
	v_mul_f32_e32 v133, v62, v245                              // 0000000089A4: 0B0BEB3E
	v_mul_f32_e32 v134, v62, v246                              // 0000000089A8: 0B0DED3E
	v_mul_f32_e32 v135, v62, v247                              // 0000000089AC: 0B0FEF3E
	v_mul_f32_e32 v136, v62, v248                              // 0000000089B0: 0B11F13E
	v_mul_f32_e32 v137, v62, v249                              // 0000000089B4: 0B13F33E
	v_mul_f32_e32 v138, v62, v250                              // 0000000089B8: 0B15F53E
	v_mul_f32_e32 v139, v62, v251                              // 0000000089BC: 0B17F73E
	v_mul_f32_e32 v140, v62, v252                              // 0000000089C0: 0B19F93E
	v_mul_f32_e32 v141, v62, v253                              // 0000000089C4: 0B1BFB3E
	v_mul_f32_e32 v142, v62, v254                              // 0000000089C8: 0B1DFD3E
	v_mul_f32_e32 v143, v62, v255                              // 0000000089CC: 0B1FFF3E
	v_cvt_pk_fp8_f32 v128, v128, v129                          // 0000000089D0: D2A20080 00030380
	v_cvt_pk_fp8_f32 v128, v130, v131 op_sel:[0,0,1]           // 0000000089D8: D2A24080 00030782
	v_cvt_pk_fp8_f32 v129, v132, v133                          // 0000000089E0: D2A20081 00030B84
	v_cvt_pk_fp8_f32 v129, v134, v135 op_sel:[0,0,1]           // 0000000089E8: D2A24081 00030F86
	v_cvt_pk_fp8_f32 v130, v136, v137                          // 0000000089F0: D2A20082 00031388
	v_cvt_pk_fp8_f32 v130, v138, v139 op_sel:[0,0,1]           // 0000000089F8: D2A24082 0003178A
	v_cvt_pk_fp8_f32 v131, v140, v141                          // 000000008A00: D2A20083 00031B8C
	v_cvt_pk_fp8_f32 v131, v142, v143 op_sel:[0,0,1]           // 000000008A08: D2A24083 00031F8E
	ds_write_b32 v13, v128 offset:25088                        // 000000008A10: D81A6200 0000800D
	ds_write_b32 v13, v129 offset:26112                        // 000000008A18: D81A6600 0000810D
	ds_write_b32 v13, v130 offset:27136                        // 000000008A20: D81A6A00 0000820D
	ds_write_b32 v13, v131 offset:28160                        // 000000008A28: D81A6E00 0000830D
	v_add_f32_e32 v224, v224, v192                             // 000000008A30: 03C181E0
	v_add_f32_e32 v225, v225, v193                             // 000000008A34: 03C383E1
	v_add_f32_e32 v226, v226, v194                             // 000000008A38: 03C585E2
	v_add_f32_e32 v227, v227, v195                             // 000000008A3C: 03C787E3
	v_add_f32_e32 v228, v228, v196                             // 000000008A40: 03C989E4
	v_add_f32_e32 v229, v229, v197                             // 000000008A44: 03CB8BE5
	v_add_f32_e32 v230, v230, v198                             // 000000008A48: 03CD8DE6
	v_add_f32_e32 v231, v231, v199                             // 000000008A4C: 03CF8FE7
	v_rcp_f32_e32 v58, v62                                     // 000000008A50: 7E74453E
	s_waitcnt lgkmcnt(0)                                       // 000000008A54: BF8CC07F
	s_barrier                                                  // 000000008A58: BF8A0000
	ds_read_b64 v[128:129], v12 offset:25088                   // 000000008A5C: D8EC6200 8000000C
	ds_read_b64 v[130:131], v12 offset:25216                   // 000000008A64: D8EC6280 8200000C
	ds_read_b64 v[132:133], v12 offset:26112                   // 000000008A6C: D8EC6600 8400000C
	ds_read_b64 v[134:135], v12 offset:26240                   // 000000008A74: D8EC6680 8600000C
	ds_read_b64 v[136:137], v12 offset:27136                   // 000000008A7C: D8EC6A00 8800000C
	ds_read_b64 v[138:139], v12 offset:27264                   // 000000008A84: D8EC6A80 8A00000C
	ds_read_b64 v[140:141], v12 offset:28160                   // 000000008A8C: D8EC6E00 8C00000C
	ds_read_b64 v[142:143], v12 offset:28288                   // 000000008A94: D8EC6E80 8E00000C
	s_waitcnt vmcnt(15)                                        // 000000008A9C: BF8C0F7F
	s_waitcnt lgkmcnt(7)                                       // 000000008AA0: BF8CC77F
	v_mfma_f32_16x16x32_fp8_fp8 v[192:195], a[96:97], v[128:129], 0// 000000008AA4: D3F300C0 0A030160
	buffer_load_dwordx4 a[80:83], v33, s[20:23], 0 offen offset:1024// 000000008AAC: E05C1400 80855021
	s_waitcnt lgkmcnt(6)                                       // 000000008AB4: BF8CC67F
	v_mfma_f32_16x16x32_fp8_fp8 v[192:195], a[98:99], v[130:131], v[192:195]// 000000008AB8: D3F300C0 0F030562
	s_waitcnt lgkmcnt(5)                                       // 000000008AC0: BF8CC57F
	v_mfma_f32_16x16x32_fp8_fp8 v[192:195], a[100:101], v[132:133], v[192:195]// 000000008AC4: D3F300C0 0F030964
	s_waitcnt lgkmcnt(4)                                       // 000000008ACC: BF8CC47F
	v_mfma_f32_16x16x32_fp8_fp8 v[192:195], a[102:103], v[134:135], v[192:195]// 000000008AD0: D3F300C0 0F030D66
	s_waitcnt lgkmcnt(3)                                       // 000000008AD8: BF8CC37F
	v_mfma_f32_16x16x32_fp8_fp8 v[192:195], a[104:105], v[136:137], v[192:195]// 000000008ADC: D3F300C0 0F031168
	buffer_load_dwordx4 a[84:87], v34, s[20:23], 0 offen offset:1024// 000000008AE4: E05C1400 80855422
	s_waitcnt lgkmcnt(2)                                       // 000000008AEC: BF8CC27F
	v_mfma_f32_16x16x32_fp8_fp8 v[192:195], a[106:107], v[138:139], v[192:195]// 000000008AF0: D3F300C0 0F03156A
	s_waitcnt lgkmcnt(1)                                       // 000000008AF8: BF8CC17F
	v_mfma_f32_16x16x32_fp8_fp8 v[192:195], a[108:109], v[140:141], v[192:195]// 000000008AFC: D3F300C0 0F03196C
	s_waitcnt lgkmcnt(0)                                       // 000000008B04: BF8CC07F
	v_mfma_f32_16x16x32_fp8_fp8 v[192:195], a[110:111], v[142:143], v[192:195]// 000000008B08: D3F300C0 0F031D6E
	v_mfma_f32_16x16x32_fp8_fp8 v[196:199], a[112:113], v[128:129], 0// 000000008B10: D3F300C4 0A030170
	buffer_load_dwordx4 a[88:91], v35, s[20:23], 0 offen offset:1024// 000000008B18: E05C1400 80855823
	v_mfma_f32_16x16x32_fp8_fp8 v[196:199], a[114:115], v[130:131], v[196:199]// 000000008B20: D3F300C4 0F130572
	v_mfma_f32_16x16x32_fp8_fp8 v[196:199], a[116:117], v[132:133], v[196:199]// 000000008B28: D3F300C4 0F130974
	v_mfma_f32_16x16x32_fp8_fp8 v[196:199], a[118:119], v[134:135], v[196:199]// 000000008B30: D3F300C4 0F130D76
	v_mfma_f32_16x16x32_fp8_fp8 v[196:199], a[120:121], v[136:137], v[196:199]// 000000008B38: D3F300C4 0F131178
	buffer_load_dwordx4 a[92:95], v36, s[20:23], 0 offen offset:1024// 000000008B40: E05C1400 80855C24
	v_mfma_f32_16x16x32_fp8_fp8 v[196:199], a[122:123], v[138:139], v[196:199]// 000000008B48: D3F300C4 0F13157A
	v_mfma_f32_16x16x32_fp8_fp8 v[196:199], a[124:125], v[140:141], v[196:199]// 000000008B50: D3F300C4 0F13197C
	s_lshr_b32 s57, s70, 4                                     // 000000008B58: 8F398446
	s_add_u32 s57, 48, s57                                     // 000000008B5C: 803939B0
	v_mfma_f32_16x16x32_fp8_fp8 v[196:199], a[126:127], v[142:143], v[196:199]// 000000008B60: D3F300C4 0F131D7E
	s_cmp_ge_u32 s57, s73                                      // 000000008B68: BF094939
	s_cselect_b32 s56, 0, s56                                  // 000000008B6C: 85383880
	v_add_u32_e32 v1, s56, v1                                  // 000000008B70: 68020238
	s_addk_i32 s70, 0x100                                      // 000000008B74: B7460100
	s_cmp_lt_i32 s70, s71                                      // 000000008B78: BF044746
	s_cbranch_scc0 label_14D5                                  // 000000008B7C: BF84FA75
	s_branch label_14D8                                        // 000000008B80: BF82FA77

0000000000008b84 <label_1A61>:
	s_lshr_b32 s60, s71, 4                                     // 000000008B84: 8F3C8447
	s_cmp_eq_i32 s60, s73                                      // 000000008B88: BF00493C
	s_cbranch_scc1 label_2050                                  // 000000008B8C: BF8505EC
	s_lshr_b32 s60, s71, 8                                     // 000000008B90: 8F3C8847
	s_and_b32 s60, s60, 1                                      // 000000008B94: 863C813C
	s_cmp_eq_i32 s60, 1                                        // 000000008B98: BF00813C
	s_cbranch_scc1 label_1D5C                                  // 000000008B9C: BF8502F4
	s_waitcnt vmcnt(8) lgkmcnt(0)                              // 000000008BA0: BF8C0078
	s_barrier                                                  // 000000008BA4: BF8A0000
	v_mfma_f32_16x16x32_fp8_fp8 v[128:131], a[0:1], v[96:97], 0// 000000008BA8: D3F30080 0A02C100
	v_mfma_f32_16x16x32_fp8_fp8 v[128:131], a[2:3], v[98:99], v[128:131]// 000000008BB0: D3F30080 0E02C502
	v_mfma_f32_16x16x32_fp8_fp8 v[128:131], a[4:5], v[100:101], v[128:131]// 000000008BB8: D3F30080 0E02C904
	v_mfma_f32_16x16x32_fp8_fp8 v[128:131], a[6:7], v[102:103], v[128:131]// 000000008BC0: D3F30080 0E02CD06
	v_mfma_f32_16x16x32_fp8_fp8 v[132:135], a[8:9], v[96:97], 0// 000000008BC8: D3F30084 0A02C108
	v_mfma_f32_16x16x32_fp8_fp8 v[132:135], a[10:11], v[98:99], v[132:135]// 000000008BD0: D3F30084 0E12C50A
	v_mfma_f32_16x16x32_fp8_fp8 v[132:135], a[12:13], v[100:101], v[132:135]// 000000008BD8: D3F30084 0E12C90C
	v_mfma_f32_16x16x32_fp8_fp8 v[132:135], a[14:15], v[102:103], v[132:135]// 000000008BE0: D3F30084 0E12CD0E
	v_mfma_f32_16x16x32_fp8_fp8 v[136:139], a[16:17], v[96:97], 0// 000000008BE8: D3F30088 0A02C110
	v_mfma_f32_16x16x32_fp8_fp8 v[136:139], a[18:19], v[98:99], v[136:139]// 000000008BF0: D3F30088 0E22C512
	v_mfma_f32_16x16x32_fp8_fp8 v[136:139], a[20:21], v[100:101], v[136:139]// 000000008BF8: D3F30088 0E22C914
	v_mfma_f32_16x16x32_fp8_fp8 v[136:139], a[22:23], v[102:103], v[136:139]// 000000008C00: D3F30088 0E22CD16
	v_mfma_f32_16x16x32_fp8_fp8 v[140:143], a[24:25], v[96:97], 0// 000000008C08: D3F3008C 0A02C118
	v_mfma_f32_16x16x32_fp8_fp8 v[140:143], a[26:27], v[98:99], v[140:143]// 000000008C10: D3F3008C 0E32C51A
	v_mfma_f32_16x16x32_fp8_fp8 v[140:143], a[28:29], v[100:101], v[140:143]// 000000008C18: D3F3008C 0E32C91C
	v_mfma_f32_16x16x32_fp8_fp8 v[140:143], a[30:31], v[102:103], v[140:143]// 000000008C20: D3F3008C 0E32CD1E
	v_mov_b32_dpp v41, v52 row_shr:4 row_mask:0xf bank_mask:0xf// 000000008C28: 7E5202FA FF011434
	v_mov_b32_dpp v42, v52 row_shl:4 row_mask:0xf bank_mask:0xf// 000000008C30: 7E5402FA FF010434
	v_cndmask_b32_e64 v248, v52, v41, s[44:45]                 // 000000008C38: D10000F8 00B25334
	v_cndmask_b32_e64 v249, v42, v52, s[44:45]                 // 000000008C40: D10000F9 00B2692A
	v_mov_b32_dpp v41, v248 row_shr:8 row_mask:0xf bank_mask:0xf// 000000008C48: 7E5202FA FF0118F8
	v_mov_b32_dpp v42, v248 row_shl:8 row_mask:0xf bank_mask:0xf// 000000008C50: 7E5402FA FF0108F8
	v_mov_b32_dpp v43, v249 row_shr:8 row_mask:0xf bank_mask:0xf// 000000008C58: 7E5602FA FF0118F9
	v_mov_b32_dpp v44, v249 row_shl:8 row_mask:0xf bank_mask:0xf// 000000008C60: 7E5802FA FF0108F9
	v_mov_b32_e32 v45, v248                                    // 000000008C68: 7E5A03F8
	v_mov_b32_e32 v46, v249                                    // 000000008C6C: 7E5C03F9
	v_cndmask_b32_e64 v248, v45, v41, s[42:43]                 // 000000008C70: D10000F8 00AA532D
	v_cndmask_b32_e64 v250, v45, v42, s[78:79]                 // 000000008C78: D10000FA 013A552D
	v_cndmask_b32_e64 v249, v46, v43, s[42:43]                 // 000000008C80: D10000F9 00AA572E
	v_cndmask_b32_e64 v251, v46, v44, s[78:79]                 // 000000008C88: D10000FB 013A592E
	v_mov_b32_dpp v41, v72 row_shr:4 row_mask:0xf bank_mask:0xf// 000000008C90: 7E5202FA FF011448
	v_mov_b32_dpp v42, v72 row_shl:4 row_mask:0xf bank_mask:0xf// 000000008C98: 7E5402FA FF010448
	v_cndmask_b32_e64 v252, v72, v41, s[44:45]                 // 000000008CA0: D10000FC 00B25348
	v_cndmask_b32_e64 v253, v42, v72, s[44:45]                 // 000000008CA8: D10000FD 00B2912A
	v_mov_b32_dpp v41, v252 row_shr:8 row_mask:0xf bank_mask:0xf// 000000008CB0: 7E5202FA FF0118FC
	v_mov_b32_dpp v42, v252 row_shl:8 row_mask:0xf bank_mask:0xf// 000000008CB8: 7E5402FA FF0108FC
	v_mov_b32_dpp v43, v253 row_shr:8 row_mask:0xf bank_mask:0xf// 000000008CC0: 7E5602FA FF0118FD
	v_mov_b32_dpp v44, v253 row_shl:8 row_mask:0xf bank_mask:0xf// 000000008CC8: 7E5802FA FF0108FD
	v_mov_b32_e32 v45, v252                                    // 000000008CD0: 7E5A03FC
	v_mov_b32_e32 v46, v253                                    // 000000008CD4: 7E5C03FD
	v_cndmask_b32_e64 v252, v45, v41, s[42:43]                 // 000000008CD8: D10000FC 00AA532D
	v_cndmask_b32_e64 v254, v45, v42, s[78:79]                 // 000000008CE0: D10000FE 013A552D
	v_cndmask_b32_e64 v253, v46, v43, s[42:43]                 // 000000008CE8: D10000FD 00AA572E
	v_cndmask_b32_e64 v255, v46, v44, s[78:79]                 // 000000008CF0: D10000FF 013A592E
	v_mul_f32_e32 v128, v54, v128                              // 000000008CF8: 0B010136
	v_mul_f32_e32 v129, v54, v129                              // 000000008CFC: 0B030336
	v_mul_f32_e32 v130, v54, v130                              // 000000008D00: 0B050536
	v_mul_f32_e32 v131, v54, v131                              // 000000008D04: 0B070736
	v_mul_f32_e32 v132, v54, v132                              // 000000008D08: 0B090936
	v_mul_f32_e32 v133, v54, v133                              // 000000008D0C: 0B0B0B36
	v_mul_f32_e32 v134, v54, v134                              // 000000008D10: 0B0D0D36
	v_mul_f32_e32 v135, v54, v135                              // 000000008D14: 0B0F0F36
	v_mul_f32_e32 v136, v54, v136                              // 000000008D18: 0B111136
	v_mul_f32_e32 v137, v54, v137                              // 000000008D1C: 0B131336
	v_mul_f32_e32 v138, v54, v138                              // 000000008D20: 0B151536
	v_mul_f32_e32 v139, v54, v139                              // 000000008D24: 0B171736
	v_mul_f32_e32 v140, v54, v140                              // 000000008D28: 0B191936
	v_mul_f32_e32 v141, v54, v141                              // 000000008D2C: 0B1B1B36
	v_mul_f32_e32 v142, v54, v142                              // 000000008D30: 0B1D1D36
	v_mul_f32_e32 v143, v54, v143                              // 000000008D34: 0B1F1F36
	v_mul_f32_dpp v128, v248, v128 quad_perm:[0,0,0,0] row_mask:0xf bank_mask:0xf// 000000008D38: 0B0100FA FF0000F8
	v_mul_f32_dpp v129, v248, v129 quad_perm:[1,1,1,1] row_mask:0xf bank_mask:0xf// 000000008D40: 0B0302FA FF0055F8
	v_mul_f32_dpp v130, v248, v130 quad_perm:[2,2,2,2] row_mask:0xf bank_mask:0xf// 000000008D48: 0B0504FA FF00AAF8
	v_mul_f32_dpp v131, v248, v131 quad_perm:[3,3,3,3] row_mask:0xf bank_mask:0xf// 000000008D50: 0B0706FA FF00FFF8
	v_mul_f32_dpp v132, v249, v132 quad_perm:[0,0,0,0] row_mask:0xf bank_mask:0xf// 000000008D58: 0B0908FA FF0000F9
	v_mul_f32_dpp v133, v249, v133 quad_perm:[1,1,1,1] row_mask:0xf bank_mask:0xf// 000000008D60: 0B0B0AFA FF0055F9
	v_mul_f32_dpp v134, v249, v134 quad_perm:[2,2,2,2] row_mask:0xf bank_mask:0xf// 000000008D68: 0B0D0CFA FF00AAF9
	v_mul_f32_dpp v135, v249, v135 quad_perm:[3,3,3,3] row_mask:0xf bank_mask:0xf// 000000008D70: 0B0F0EFA FF00FFF9
	v_mul_f32_dpp v136, v250, v136 quad_perm:[0,0,0,0] row_mask:0xf bank_mask:0xf// 000000008D78: 0B1110FA FF0000FA
	v_mul_f32_dpp v137, v250, v137 quad_perm:[1,1,1,1] row_mask:0xf bank_mask:0xf// 000000008D80: 0B1312FA FF0055FA
	v_mul_f32_dpp v138, v250, v138 quad_perm:[2,2,2,2] row_mask:0xf bank_mask:0xf// 000000008D88: 0B1514FA FF00AAFA
	v_mul_f32_dpp v139, v250, v139 quad_perm:[3,3,3,3] row_mask:0xf bank_mask:0xf// 000000008D90: 0B1716FA FF00FFFA
	v_mul_f32_dpp v140, v251, v140 quad_perm:[0,0,0,0] row_mask:0xf bank_mask:0xf// 000000008D98: 0B1918FA FF0000FB
	v_mul_f32_dpp v141, v251, v141 quad_perm:[1,1,1,1] row_mask:0xf bank_mask:0xf// 000000008DA0: 0B1B1AFA FF0055FB
	v_mul_f32_dpp v142, v251, v142 quad_perm:[2,2,2,2] row_mask:0xf bank_mask:0xf// 000000008DA8: 0B1D1CFA FF00AAFB
	v_mul_f32_dpp v143, v251, v143 quad_perm:[3,3,3,3] row_mask:0xf bank_mask:0xf// 000000008DB0: 0B1F1EFA FF00FFFB
	s_cmp_le_i32 s90, s89                                      // 000000008DB8: BF05595A
	s_cbranch_scc1 label_1B63                                  // 000000008DBC: BF850073
	v_mov_b32_e32 v69, 0xff800000                              // 000000008DC0: 7E8A02FF FF800000
	s_mov_b32 s60, s90                                         // 000000008DC8: BEBC005A
	s_add_u32 s61, s89, 0xff                                   // 000000008DCC: 803DFF59 000000FF
	v_mov_b32_e32 v41, s61                                     // 000000008DD4: 7E52023D
	v_lshrrev_b32_e32 v240, 4, v0                              // 000000008DD8: 21E00084
	v_mul_i32_i24_e32 v240, 4, v240                            // 000000008DDC: 0DE1E084
	v_add_u32_e32 v240, s60, v240                              // 000000008DE0: 69E1E03C
	v_and_b32_e32 v42, 15, v0                                  // 000000008DE4: 2654008F
	v_lshrrev_b32_e32 v42, 3, v42                              // 000000008DE8: 20545483
	s_mov_b32 s61, 0                                           // 000000008DEC: BEBD0080
	s_mul_i32 s60, 16, s7                                      // 000000008DF0: 923C0790
	v_add_u32_e32 v42, s61, v42                                // 000000008DF4: 6854543D
	v_sub_u32_e32 v240, v240, v42                              // 000000008DF8: 6BE055F0
	v_add_u32_e32 v240, s60, v240                              // 000000008DFC: 69E1E03C
	v_add_u32_e32 v241, 1, v240                                // 000000008E00: 69E3E081
	v_add_u32_e32 v242, 2, v240                                // 000000008E04: 69E5E082
	v_add_u32_e32 v243, 3, v240                                // 000000008E08: 69E7E083
	v_cmp_le_u32_e64 s[40:41], v240, v41                       // 000000008E0C: D0CB0028 000253F0
	v_add_u32_e32 v240, 64, v240                               // 000000008E14: 69E1E0C0
	s_nop 0                                                    // 000000008E18: BF800000
	v_cndmask_b32_e64 v128, v69, v128, s[40:41]                // 000000008E1C: D1000080 00A30145
	v_cmp_le_u32_e64 s[40:41], v241, v41                       // 000000008E24: D0CB0028 000253F1
	v_add_u32_e32 v241, 64, v241                               // 000000008E2C: 69E3E2C0
	s_nop 0                                                    // 000000008E30: BF800000
	v_cndmask_b32_e64 v129, v69, v129, s[40:41]                // 000000008E34: D1000081 00A30345
	v_cmp_le_u32_e64 s[40:41], v242, v41                       // 000000008E3C: D0CB0028 000253F2
	v_add_u32_e32 v242, 64, v242                               // 000000008E44: 69E5E4C0
	s_nop 0                                                    // 000000008E48: BF800000
	v_cndmask_b32_e64 v130, v69, v130, s[40:41]                // 000000008E4C: D1000082 00A30545
	v_cmp_le_u32_e64 s[40:41], v243, v41                       // 000000008E54: D0CB0028 000253F3
	v_add_u32_e32 v243, 64, v243                               // 000000008E5C: 69E7E6C0
	s_nop 0                                                    // 000000008E60: BF800000
	v_cndmask_b32_e64 v131, v69, v131, s[40:41]                // 000000008E64: D1000083 00A30745
	v_cmp_le_u32_e64 s[40:41], v240, v41                       // 000000008E6C: D0CB0028 000253F0
	v_add_u32_e32 v240, 64, v240                               // 000000008E74: 69E1E0C0
	s_nop 0                                                    // 000000008E78: BF800000
	v_cndmask_b32_e64 v132, v69, v132, s[40:41]                // 000000008E7C: D1000084 00A30945
	v_cmp_le_u32_e64 s[40:41], v241, v41                       // 000000008E84: D0CB0028 000253F1
	v_add_u32_e32 v241, 64, v241                               // 000000008E8C: 69E3E2C0
	s_nop 0                                                    // 000000008E90: BF800000
	v_cndmask_b32_e64 v133, v69, v133, s[40:41]                // 000000008E94: D1000085 00A30B45
	v_cmp_le_u32_e64 s[40:41], v242, v41                       // 000000008E9C: D0CB0028 000253F2
	v_add_u32_e32 v242, 64, v242                               // 000000008EA4: 69E5E4C0
	s_nop 0                                                    // 000000008EA8: BF800000
	v_cndmask_b32_e64 v134, v69, v134, s[40:41]                // 000000008EAC: D1000086 00A30D45
	v_cmp_le_u32_e64 s[40:41], v243, v41                       // 000000008EB4: D0CB0028 000253F3
	v_add_u32_e32 v243, 64, v243                               // 000000008EBC: 69E7E6C0
	s_nop 0                                                    // 000000008EC0: BF800000
	v_cndmask_b32_e64 v135, v69, v135, s[40:41]                // 000000008EC4: D1000087 00A30F45
	v_cmp_le_u32_e64 s[40:41], v240, v41                       // 000000008ECC: D0CB0028 000253F0
	v_add_u32_e32 v240, 64, v240                               // 000000008ED4: 69E1E0C0
	s_nop 0                                                    // 000000008ED8: BF800000
	v_cndmask_b32_e64 v136, v69, v136, s[40:41]                // 000000008EDC: D1000088 00A31145
	v_cmp_le_u32_e64 s[40:41], v241, v41                       // 000000008EE4: D0CB0028 000253F1
	v_add_u32_e32 v241, 64, v241                               // 000000008EEC: 69E3E2C0
	s_nop 0                                                    // 000000008EF0: BF800000
	v_cndmask_b32_e64 v137, v69, v137, s[40:41]                // 000000008EF4: D1000089 00A31345
	v_cmp_le_u32_e64 s[40:41], v242, v41                       // 000000008EFC: D0CB0028 000253F2
	v_add_u32_e32 v242, 64, v242                               // 000000008F04: 69E5E4C0
	s_nop 0                                                    // 000000008F08: BF800000
	v_cndmask_b32_e64 v138, v69, v138, s[40:41]                // 000000008F0C: D100008A 00A31545
	v_cmp_le_u32_e64 s[40:41], v243, v41                       // 000000008F14: D0CB0028 000253F3
	v_add_u32_e32 v243, 64, v243                               // 000000008F1C: 69E7E6C0
	s_nop 0                                                    // 000000008F20: BF800000
	v_cndmask_b32_e64 v139, v69, v139, s[40:41]                // 000000008F24: D100008B 00A31745
	v_cmp_le_u32_e64 s[40:41], v240, v41                       // 000000008F2C: D0CB0028 000253F0
	v_add_u32_e32 v240, 64, v240                               // 000000008F34: 69E1E0C0
	s_nop 0                                                    // 000000008F38: BF800000
	v_cndmask_b32_e64 v140, v69, v140, s[40:41]                // 000000008F3C: D100008C 00A31945
	v_cmp_le_u32_e64 s[40:41], v241, v41                       // 000000008F44: D0CB0028 000253F1
	v_add_u32_e32 v241, 64, v241                               // 000000008F4C: 69E3E2C0
	s_nop 0                                                    // 000000008F50: BF800000
	v_cndmask_b32_e64 v141, v69, v141, s[40:41]                // 000000008F54: D100008D 00A31B45
	v_cmp_le_u32_e64 s[40:41], v242, v41                       // 000000008F5C: D0CB0028 000253F2
	v_add_u32_e32 v242, 64, v242                               // 000000008F64: 69E5E4C0
	s_nop 0                                                    // 000000008F68: BF800000
	v_cndmask_b32_e64 v142, v69, v142, s[40:41]                // 000000008F6C: D100008E 00A31D45
	v_cmp_le_u32_e64 s[40:41], v243, v41                       // 000000008F74: D0CB0028 000253F3
	v_add_u32_e32 v243, 64, v243                               // 000000008F7C: 69E7E6C0
	s_nop 0                                                    // 000000008F80: BF800000
	v_cndmask_b32_e64 v143, v69, v143, s[40:41]                // 000000008F84: D100008F 00A31F45

0000000000008f8c <label_1B63>:
	s_add_u32 s90, s91, s90                                    // 000000008F8C: 805A5A5B
	s_and_b32 s60, s72, 0xff                                   // 000000008F90: 863CFF48 000000FF
	v_mov_b32_e32 v42, s60                                     // 000000008F98: 7E54023C
	v_lshrrev_b32_e32 v240, 4, v0                              // 000000008F9C: 21E00084
	v_mul_i32_i24_e32 v240, 4, v240                            // 000000008FA0: 0DE1E084
	s_mul_i32 s60, s7, 16                                      // 000000008FA4: 923C9007
	v_add_u32_e32 v240, s60, v240                              // 000000008FA8: 69E1E03C
	v_add_u32_e32 v241, 1, v240                                // 000000008FAC: 69E3E081
	v_add_u32_e32 v242, 2, v240                                // 000000008FB0: 69E5E082
	v_add_u32_e32 v243, 3, v240                                // 000000008FB4: 69E7E083
	v_mov_b32_e32 v41, 0xff800000                              // 000000008FB8: 7E5202FF FF800000
	v_cmp_lt_u32_e64 s[40:41], v240, v42                       // 000000008FC0: D0C90028 000255F0
	v_add_u32_e32 v240, 64, v240                               // 000000008FC8: 69E1E0C0
	s_nop 0                                                    // 000000008FCC: BF800000
	v_cndmask_b32_e64 v128, v41, v128, s[40:41]                // 000000008FD0: D1000080 00A30129
	v_cmp_lt_u32_e64 s[40:41], v241, v42                       // 000000008FD8: D0C90028 000255F1
	v_add_u32_e32 v241, 64, v241                               // 000000008FE0: 69E3E2C0
	s_nop 0                                                    // 000000008FE4: BF800000
	v_cndmask_b32_e64 v129, v41, v129, s[40:41]                // 000000008FE8: D1000081 00A30329
	v_cmp_lt_u32_e64 s[40:41], v242, v42                       // 000000008FF0: D0C90028 000255F2
	v_add_u32_e32 v242, 64, v242                               // 000000008FF8: 69E5E4C0
	s_nop 0                                                    // 000000008FFC: BF800000
	v_cndmask_b32_e64 v130, v41, v130, s[40:41]                // 000000009000: D1000082 00A30529
	v_cmp_lt_u32_e64 s[40:41], v243, v42                       // 000000009008: D0C90028 000255F3
	v_add_u32_e32 v243, 64, v243                               // 000000009010: 69E7E6C0
	s_nop 0                                                    // 000000009014: BF800000
	v_cndmask_b32_e64 v131, v41, v131, s[40:41]                // 000000009018: D1000083 00A30729
	v_cmp_lt_u32_e64 s[40:41], v240, v42                       // 000000009020: D0C90028 000255F0
	v_add_u32_e32 v240, 64, v240                               // 000000009028: 69E1E0C0
	s_nop 0                                                    // 00000000902C: BF800000
	v_cndmask_b32_e64 v132, v41, v132, s[40:41]                // 000000009030: D1000084 00A30929
	v_cmp_lt_u32_e64 s[40:41], v241, v42                       // 000000009038: D0C90028 000255F1
	v_add_u32_e32 v241, 64, v241                               // 000000009040: 69E3E2C0
	s_nop 0                                                    // 000000009044: BF800000
	v_cndmask_b32_e64 v133, v41, v133, s[40:41]                // 000000009048: D1000085 00A30B29
	v_cmp_lt_u32_e64 s[40:41], v242, v42                       // 000000009050: D0C90028 000255F2
	v_add_u32_e32 v242, 64, v242                               // 000000009058: 69E5E4C0
	s_nop 0                                                    // 00000000905C: BF800000
	v_cndmask_b32_e64 v134, v41, v134, s[40:41]                // 000000009060: D1000086 00A30D29
	v_cmp_lt_u32_e64 s[40:41], v243, v42                       // 000000009068: D0C90028 000255F3
	v_add_u32_e32 v243, 64, v243                               // 000000009070: 69E7E6C0
	s_nop 0                                                    // 000000009074: BF800000
	v_cndmask_b32_e64 v135, v41, v135, s[40:41]                // 000000009078: D1000087 00A30F29
	v_cmp_lt_u32_e64 s[40:41], v240, v42                       // 000000009080: D0C90028 000255F0
	v_add_u32_e32 v240, 64, v240                               // 000000009088: 69E1E0C0
	s_nop 0                                                    // 00000000908C: BF800000
	v_cndmask_b32_e64 v136, v41, v136, s[40:41]                // 000000009090: D1000088 00A31129
	v_cmp_lt_u32_e64 s[40:41], v241, v42                       // 000000009098: D0C90028 000255F1
	v_add_u32_e32 v241, 64, v241                               // 0000000090A0: 69E3E2C0
	s_nop 0                                                    // 0000000090A4: BF800000
	v_cndmask_b32_e64 v137, v41, v137, s[40:41]                // 0000000090A8: D1000089 00A31329
	v_cmp_lt_u32_e64 s[40:41], v242, v42                       // 0000000090B0: D0C90028 000255F2
	v_add_u32_e32 v242, 64, v242                               // 0000000090B8: 69E5E4C0
	s_nop 0                                                    // 0000000090BC: BF800000
	v_cndmask_b32_e64 v138, v41, v138, s[40:41]                // 0000000090C0: D100008A 00A31529
	v_cmp_lt_u32_e64 s[40:41], v243, v42                       // 0000000090C8: D0C90028 000255F3
	v_add_u32_e32 v243, 64, v243                               // 0000000090D0: 69E7E6C0
	s_nop 0                                                    // 0000000090D4: BF800000
	v_cndmask_b32_e64 v139, v41, v139, s[40:41]                // 0000000090D8: D100008B 00A31729
	v_cmp_lt_u32_e64 s[40:41], v240, v42                       // 0000000090E0: D0C90028 000255F0
	v_add_u32_e32 v240, 64, v240                               // 0000000090E8: 69E1E0C0
	s_nop 0                                                    // 0000000090EC: BF800000
	v_cndmask_b32_e64 v140, v41, v140, s[40:41]                // 0000000090F0: D100008C 00A31929
	v_cmp_lt_u32_e64 s[40:41], v241, v42                       // 0000000090F8: D0C90028 000255F1
	v_add_u32_e32 v241, 64, v241                               // 000000009100: 69E3E2C0
	s_nop 0                                                    // 000000009104: BF800000
	v_cndmask_b32_e64 v141, v41, v141, s[40:41]                // 000000009108: D100008D 00A31B29
	v_cmp_lt_u32_e64 s[40:41], v242, v42                       // 000000009110: D0C90028 000255F2
	v_add_u32_e32 v242, 64, v242                               // 000000009118: 69E5E4C0
	s_nop 0                                                    // 00000000911C: BF800000
	v_cndmask_b32_e64 v142, v41, v142, s[40:41]                // 000000009120: D100008E 00A31D29
	v_cmp_lt_u32_e64 s[40:41], v243, v42                       // 000000009128: D0C90028 000255F3
	v_add_u32_e32 v243, 64, v243                               // 000000009130: 69E7E6C0
	s_nop 0                                                    // 000000009134: BF800000
	v_cndmask_b32_e64 v143, v41, v143, s[40:41]                // 000000009138: D100008F 00A31F29
	v_mov_b32_e32 v62, v128                                    // 000000009140: 7E7C0380
	v_max3_f32 v62, v128, v129, v62                            // 000000009144: D1D3003E 04FB0380
	v_max3_f32 v62, v130, v131, v62                            // 00000000914C: D1D3003E 04FB0782
	v_max3_f32 v62, v132, v133, v62                            // 000000009154: D1D3003E 04FB0B84
	v_max3_f32 v62, v134, v135, v62                            // 00000000915C: D1D3003E 04FB0F86
	v_max3_f32 v62, v136, v137, v62                            // 000000009164: D1D3003E 04FB1388
	v_max3_f32 v62, v138, v139, v62                            // 00000000916C: D1D3003E 04FB178A
	v_max3_f32 v62, v140, v141, v62                            // 000000009174: D1D3003E 04FB1B8C
	v_max3_f32 v62, v142, v143, v62                            // 00000000917C: D1D3003E 04FB1F8E
	ds_write_b32 v11, v62 offset:16896                         // 000000009184: D81A4200 00003E0B
	v_mul_u32_u24_dpp v41, v20, v68 row_newbcast:1 row_mask:0xf bank_mask:0xf// 00000000918C: 105288FA FF015114
	v_mul_u32_u24_dpp v42, v20, v68 row_newbcast:5 row_mask:0xf bank_mask:0xf// 000000009194: 105488FA FF015514
	v_mul_u32_u24_dpp v43, v20, v68 row_newbcast:9 row_mask:0xf bank_mask:0xf// 00000000919C: 105688FA FF015914
	v_mul_u32_u24_dpp v44, v20, v68 row_newbcast:13 row_mask:0xf bank_mask:0xf// 0000000091A4: 105888FA FF015D14
	v_add_u32_e32 v37, v41, v7                                 // 0000000091AC: 684A0F29
	v_add_u32_e32 v38, v42, v7                                 // 0000000091B0: 684C0F2A
	v_add_u32_e32 v39, v43, v7                                 // 0000000091B4: 684E0F2B
	v_add_u32_e32 v40, v44, v7                                 // 0000000091B8: 68500F2C
	v_mul_f32_e32 v224, v63, v224                              // 0000000091BC: 0BC1C13F
	v_mul_f32_e32 v225, v63, v225                              // 0000000091C0: 0BC3C33F
	v_mul_f32_e32 v226, v63, v226                              // 0000000091C4: 0BC5C53F
	v_mul_f32_e32 v227, v63, v227                              // 0000000091C8: 0BC7C73F
	v_mul_f32_e32 v228, v63, v228                              // 0000000091CC: 0BC9C93F
	v_mul_f32_e32 v229, v63, v229                              // 0000000091D0: 0BCBCB3F
	v_mul_f32_e32 v230, v63, v230                              // 0000000091D4: 0BCDCD3F
	v_mul_f32_e32 v231, v63, v231                              // 0000000091D8: 0BCFCF3F
	s_waitcnt lgkmcnt(0)                                       // 0000000091DC: BF8CC07F
	s_barrier                                                  // 0000000091E0: BF8A0000
	ds_read_b32 v80, v10 offset:16896                          // 0000000091E4: D86C4200 5000000A
	ds_read_b32 v81, v10 offset:16960                          // 0000000091EC: D86C4240 5100000A
	ds_read_b32 v82, v10 offset:17024                          // 0000000091F4: D86C4280 5200000A
	ds_read_b32 v83, v10 offset:17088                          // 0000000091FC: D86C42C0 5300000A
	ds_read_b32 v84, v10 offset:17152                          // 000000009204: D86C4300 5400000A
	ds_read_b32 v85, v10 offset:17216                          // 00000000920C: D86C4340 5500000A
	ds_read_b32 v86, v10 offset:17280                          // 000000009214: D86C4380 5600000A
	ds_read_b32 v87, v10 offset:17344                          // 00000000921C: D86C43C0 5700000A
	ds_read_b32 v88, v10 offset:17408                          // 000000009224: D86C4400 5800000A
	ds_read_b32 v89, v10 offset:17472                          // 00000000922C: D86C4440 5900000A
	ds_read_b32 v90, v10 offset:17536                          // 000000009234: D86C4480 5A00000A
	ds_read_b32 v91, v10 offset:17600                          // 00000000923C: D86C44C0 5B00000A
	ds_read_b32 v92, v10 offset:17664                          // 000000009244: D86C4500 5C00000A
	ds_read_b32 v93, v10 offset:17728                          // 00000000924C: D86C4540 5D00000A
	ds_read_b32 v94, v10 offset:17792                          // 000000009254: D86C4580 5E00000A
	ds_read_b32 v95, v10 offset:17856                          // 00000000925C: D86C45C0 5F00000A
	v_mul_f32_e32 v192, v58, v192                              // 000000009264: 0B81813A
	v_mul_f32_e32 v193, v58, v193                              // 000000009268: 0B83833A
	v_mul_f32_e32 v194, v58, v194                              // 00000000926C: 0B85853A
	v_mul_f32_e32 v195, v58, v195                              // 000000009270: 0B87873A
	v_mul_f32_e32 v196, v58, v196                              // 000000009274: 0B89893A
	v_mul_f32_e32 v197, v58, v197                              // 000000009278: 0B8B8B3A
	v_mul_f32_e32 v198, v58, v198                              // 00000000927C: 0B8D8D3A
	v_mul_f32_e32 v199, v58, v199                              // 000000009280: 0B8F8F3A
	s_waitcnt lgkmcnt(0)                                       // 000000009284: BF8CC07F
	v_max3_f32 v62, v80, v81, v62                              // 000000009288: D1D3003E 04FAA350
	v_max3_f32 v62, v82, v83, v62                              // 000000009290: D1D3003E 04FAA752
	v_max3_f32 v62, v84, v85, v62                              // 000000009298: D1D3003E 04FAAB54
	v_max3_f32 v62, v86, v87, v62                              // 0000000092A0: D1D3003E 04FAAF56
	v_max3_f32 v62, v88, v89, v62                              // 0000000092A8: D1D3003E 04FAB358
	v_max3_f32 v62, v90, v91, v62                              // 0000000092B0: D1D3003E 04FAB75A
	v_max3_f32 v62, v92, v93, v62                              // 0000000092B8: D1D3003E 04FABB5C
	v_max3_f32 v62, v94, v95, v62                              // 0000000092C0: D1D3003E 04FABF5E
	v_mov_b32_e32 v41, 0xff800000                              // 0000000092C8: 7E5202FF FF800000
	v_cmp_eq_u32_e64 s[40:41], v41, v14                        // 0000000092D0: D0CA0028 00021D29
	s_nop 1                                                    // 0000000092D8: BF800001
	v_max_f32_e32 v18, v62, v14                                // 0000000092DC: 16241D3E
	v_mul_f32_e32 v67, s64, v18                                // 0000000092E0: 0A862440
	v_fma_f32 v128, v128, s64, -v67                            // 0000000092E4: D1CB0080 850C8180
	v_fma_f32 v129, v129, s64, -v67                            // 0000000092EC: D1CB0081 850C8181
	v_fma_f32 v130, v130, s64, -v67                            // 0000000092F4: D1CB0082 850C8182
	v_fma_f32 v131, v131, s64, -v67                            // 0000000092FC: D1CB0083 850C8183
	v_fma_f32 v132, v132, s64, -v67                            // 000000009304: D1CB0084 850C8184
	v_fma_f32 v133, v133, s64, -v67                            // 00000000930C: D1CB0085 850C8185
	v_fma_f32 v134, v134, s64, -v67                            // 000000009314: D1CB0086 850C8186
	v_fma_f32 v135, v135, s64, -v67                            // 00000000931C: D1CB0087 850C8187
	v_fma_f32 v136, v136, s64, -v67                            // 000000009324: D1CB0088 850C8188
	v_fma_f32 v137, v137, s64, -v67                            // 00000000932C: D1CB0089 850C8189
	v_fma_f32 v138, v138, s64, -v67                            // 000000009334: D1CB008A 850C818A
	v_fma_f32 v139, v139, s64, -v67                            // 00000000933C: D1CB008B 850C818B
	v_fma_f32 v140, v140, s64, -v67                            // 000000009344: D1CB008C 850C818C
	v_fma_f32 v141, v141, s64, -v67                            // 00000000934C: D1CB008D 850C818D
	v_fma_f32 v142, v142, s64, -v67                            // 000000009354: D1CB008E 850C818E
	v_fma_f32 v143, v143, s64, -v67                            // 00000000935C: D1CB008F 850C818F
	v_exp_f32_e32 v128, v128                                   // 000000009364: 7F004180
	v_exp_f32_e32 v129, v129                                   // 000000009368: 7F024181
	v_exp_f32_e32 v130, v130                                   // 00000000936C: 7F044182
	v_exp_f32_e32 v131, v131                                   // 000000009370: 7F064183
	v_exp_f32_e32 v132, v132                                   // 000000009374: 7F084184
	v_exp_f32_e32 v133, v133                                   // 000000009378: 7F0A4185
	v_exp_f32_e32 v134, v134                                   // 00000000937C: 7F0C4186
	v_exp_f32_e32 v135, v135                                   // 000000009380: 7F0E4187
	v_exp_f32_e32 v136, v136                                   // 000000009384: 7F104188
	v_exp_f32_e32 v137, v137                                   // 000000009388: 7F124189
	v_exp_f32_e32 v138, v138                                   // 00000000938C: 7F14418A
	v_exp_f32_e32 v139, v139                                   // 000000009390: 7F16418B
	v_exp_f32_e32 v140, v140                                   // 000000009394: 7F18418C
	v_exp_f32_e32 v141, v141                                   // 000000009398: 7F1A418D
	v_exp_f32_e32 v142, v142                                   // 00000000939C: 7F1C418E
	v_exp_f32_e32 v143, v143                                   // 0000000093A0: 7F1E418F
	v_mul_f32_dpp v240, v252, v128 quad_perm:[0,0,0,0] row_mask:0xf bank_mask:0xf// 0000000093A4: 0BE100FA FF0000FC
	v_mul_f32_dpp v241, v252, v129 quad_perm:[1,1,1,1] row_mask:0xf bank_mask:0xf// 0000000093AC: 0BE302FA FF0055FC
	v_mul_f32_dpp v242, v252, v130 quad_perm:[2,2,2,2] row_mask:0xf bank_mask:0xf// 0000000093B4: 0BE504FA FF00AAFC
	v_mul_f32_dpp v243, v252, v131 quad_perm:[3,3,3,3] row_mask:0xf bank_mask:0xf// 0000000093BC: 0BE706FA FF00FFFC
	v_mul_f32_dpp v244, v253, v132 quad_perm:[0,0,0,0] row_mask:0xf bank_mask:0xf// 0000000093C4: 0BE908FA FF0000FD
	v_mul_f32_dpp v245, v253, v133 quad_perm:[1,1,1,1] row_mask:0xf bank_mask:0xf// 0000000093CC: 0BEB0AFA FF0055FD
	v_mul_f32_dpp v246, v253, v134 quad_perm:[2,2,2,2] row_mask:0xf bank_mask:0xf// 0000000093D4: 0BED0CFA FF00AAFD
	v_mul_f32_dpp v247, v253, v135 quad_perm:[3,3,3,3] row_mask:0xf bank_mask:0xf// 0000000093DC: 0BEF0EFA FF00FFFD
	v_mul_f32_dpp v248, v254, v136 quad_perm:[0,0,0,0] row_mask:0xf bank_mask:0xf// 0000000093E4: 0BF110FA FF0000FE
	v_mul_f32_dpp v249, v254, v137 quad_perm:[1,1,1,1] row_mask:0xf bank_mask:0xf// 0000000093EC: 0BF312FA FF0055FE
	v_mul_f32_dpp v250, v254, v138 quad_perm:[2,2,2,2] row_mask:0xf bank_mask:0xf// 0000000093F4: 0BF514FA FF00AAFE
	v_mul_f32_dpp v251, v254, v139 quad_perm:[3,3,3,3] row_mask:0xf bank_mask:0xf// 0000000093FC: 0BF716FA FF00FFFE
	v_mul_f32_dpp v252, v255, v140 quad_perm:[0,0,0,0] row_mask:0xf bank_mask:0xf// 000000009404: 0BF918FA FF0000FF
	v_mul_f32_dpp v253, v255, v141 quad_perm:[1,1,1,1] row_mask:0xf bank_mask:0xf// 00000000940C: 0BFB1AFA FF0055FF
	v_mul_f32_dpp v254, v255, v142 quad_perm:[2,2,2,2] row_mask:0xf bank_mask:0xf// 000000009414: 0BFD1CFA FF00AAFF
	v_mul_f32_dpp v255, v255, v143 quad_perm:[3,3,3,3] row_mask:0xf bank_mask:0xf// 00000000941C: 0BFF1EFA FF00FFFF
	v_mov_b32_e32 v62, 0x358637bd                              // 000000009424: 7E7C02FF 358637BD
	v_max3_f32 v62, |v240|, |v241|, v62                        // 00000000942C: D1D3033E 04FBE3F0
	v_max3_f32 v62, |v242|, |v243|, v62                        // 000000009434: D1D3033E 04FBE7F2
	v_max3_f32 v62, |v244|, |v245|, v62                        // 00000000943C: D1D3033E 04FBEBF4
	v_max3_f32 v62, |v246|, |v247|, v62                        // 000000009444: D1D3033E 04FBEFF6
	v_max3_f32 v62, |v248|, |v249|, v62                        // 00000000944C: D1D3033E 04FBF3F8
	v_max3_f32 v62, |v250|, |v251|, v62                        // 000000009454: D1D3033E 04FBF7FA
	v_max3_f32 v62, |v252|, |v253|, v62                        // 00000000945C: D1D3033E 04FBFBFC
	v_max3_f32 v62, |v254|, |v255|, v62                        // 000000009464: D1D3033E 04FBFFFE
	ds_write_b32 v11, v62 offset:20992                         // 00000000946C: D81A5200 00003E0B
	v_sub_f32_e32 v63, v14, v18                                // 000000009474: 047E250E
	v_cndmask_b32_e64 v63, v63, 0, s[40:41]                    // 000000009478: D100003F 00A1013F
	v_mov_b32_e32 v14, v18                                     // 000000009480: 7E1C0312
	v_mul_f32_e32 v63, s64, v63                                // 000000009484: 0A7E7E40
	v_exp_f32_e32 v63, v63                                     // 000000009488: 7E7E413F
	s_waitcnt lgkmcnt(0)                                       // 00000000948C: BF8CC07F
	s_barrier                                                  // 000000009490: BF8A0000
	ds_read_b32 v80, v10 offset:20992                          // 000000009494: D86C5200 5000000A
	ds_read_b32 v81, v10 offset:21056                          // 00000000949C: D86C5240 5100000A
	ds_read_b32 v82, v10 offset:21120                          // 0000000094A4: D86C5280 5200000A
	ds_read_b32 v83, v10 offset:21184                          // 0000000094AC: D86C52C0 5300000A
	ds_read_b32 v84, v10 offset:21248                          // 0000000094B4: D86C5300 5400000A
	ds_read_b32 v85, v10 offset:21312                          // 0000000094BC: D86C5340 5500000A
	ds_read_b32 v86, v10 offset:21376                          // 0000000094C4: D86C5380 5600000A
	ds_read_b32 v87, v10 offset:21440                          // 0000000094CC: D86C53C0 5700000A
	ds_read_b32 v88, v10 offset:21504                          // 0000000094D4: D86C5400 5800000A
	ds_read_b32 v89, v10 offset:21568                          // 0000000094DC: D86C5440 5900000A
	ds_read_b32 v90, v10 offset:21632                          // 0000000094E4: D86C5480 5A00000A
	ds_read_b32 v91, v10 offset:21696                          // 0000000094EC: D86C54C0 5B00000A
	ds_read_b32 v92, v10 offset:21760                          // 0000000094F4: D86C5500 5C00000A
	ds_read_b32 v93, v10 offset:21824                          // 0000000094FC: D86C5540 5D00000A
	ds_read_b32 v94, v10 offset:21888                          // 000000009504: D86C5580 5E00000A
	ds_read_b32 v95, v10 offset:21952                          // 00000000950C: D86C55C0 5F00000A
	v_mul_f32_e32 v47, v63, v47                                // 000000009514: 0A5E5F3F
	v_mov_b32_e32 v18, v128                                    // 000000009518: 7E240380
	v_add_f32_e32 v18, v129, v18                               // 00000000951C: 02242581
	v_add_f32_e32 v18, v130, v18                               // 000000009520: 02242582
	v_add_f32_e32 v18, v131, v18                               // 000000009524: 02242583
	;; [unrolled: 1-line block ×3, first 2 shown]
	v_add_f32_e32 v18, v133, v18                               // 00000000952C: 02242585
	v_add_f32_e32 v18, v134, v18                               // 000000009530: 02242586
	v_add_f32_e32 v18, v135, v18                               // 000000009534: 02242587
	;; [unrolled: 1-line block ×3, first 2 shown]
	v_add_f32_e32 v18, v137, v18                               // 00000000953C: 02242589
	v_add_f32_e32 v18, v138, v18                               // 000000009540: 0224258A
	v_add_f32_e32 v18, v139, v18                               // 000000009544: 0224258B
	v_add_f32_e32 v18, v140, v18                               // 000000009548: 0224258C
	v_add_f32_e32 v18, v141, v18                               // 00000000954C: 0224258D
	v_add_f32_e32 v18, v142, v18                               // 000000009550: 0224258E
	v_add_f32_e32 v18, v143, v18                               // 000000009554: 0224258F
	v_add_f32_e32 v47, v18, v47                                // 000000009558: 025E5F12
	s_waitcnt lgkmcnt(0)                                       // 00000000955C: BF8CC07F
	v_max3_f32 v62, |v80|, |v81|, v62                          // 000000009560: D1D3033E 04FAA350
	v_max3_f32 v62, |v82|, |v83|, v62                          // 000000009568: D1D3033E 04FAA752
	v_max3_f32 v62, |v84|, |v85|, v62                          // 000000009570: D1D3033E 04FAAB54
	v_max3_f32 v62, |v86|, |v87|, v62                          // 000000009578: D1D3033E 04FAAF56
	v_max3_f32 v62, |v88|, |v89|, v62                          // 000000009580: D1D3033E 04FAB358
	v_max3_f32 v62, |v90|, |v91|, v62                          // 000000009588: D1D3033E 04FAB75A
	v_max3_f32 v62, |v92|, |v93|, v62                          // 000000009590: D1D3033E 04FABB5C
	v_max3_f32 v62, |v94|, |v95|, v62                          // 000000009598: D1D3033E 04FABF5E
	s_nop 2                                                    // 0000000095A0: BF800002
	v_rcp_f32_e32 v62, v62                                     // 0000000095A4: 7E7C453E
	s_nop 1                                                    // 0000000095A8: BF800001
	v_mul_f32_e32 v62, 0x43e00000, v62                         // 0000000095AC: 0A7C7CFF 43E00000
	v_mul_f32_e32 v128, v62, v240                              // 0000000095B4: 0B01E13E
	v_mul_f32_e32 v129, v62, v241                              // 0000000095B8: 0B03E33E
	v_mul_f32_e32 v130, v62, v242                              // 0000000095BC: 0B05E53E
	v_mul_f32_e32 v131, v62, v243                              // 0000000095C0: 0B07E73E
	v_mul_f32_e32 v132, v62, v244                              // 0000000095C4: 0B09E93E
	v_mul_f32_e32 v133, v62, v245                              // 0000000095C8: 0B0BEB3E
	v_mul_f32_e32 v134, v62, v246                              // 0000000095CC: 0B0DED3E
	v_mul_f32_e32 v135, v62, v247                              // 0000000095D0: 0B0FEF3E
	v_mul_f32_e32 v136, v62, v248                              // 0000000095D4: 0B11F13E
	v_mul_f32_e32 v137, v62, v249                              // 0000000095D8: 0B13F33E
	v_mul_f32_e32 v138, v62, v250                              // 0000000095DC: 0B15F53E
	v_mul_f32_e32 v139, v62, v251                              // 0000000095E0: 0B17F73E
	v_mul_f32_e32 v140, v62, v252                              // 0000000095E4: 0B19F93E
	v_mul_f32_e32 v141, v62, v253                              // 0000000095E8: 0B1BFB3E
	v_mul_f32_e32 v142, v62, v254                              // 0000000095EC: 0B1DFD3E
	v_mul_f32_e32 v143, v62, v255                              // 0000000095F0: 0B1FFF3E
	v_cvt_pk_fp8_f32 v128, v128, v129                          // 0000000095F4: D2A20080 00030380
	v_cvt_pk_fp8_f32 v128, v130, v131 op_sel:[0,0,1]           // 0000000095FC: D2A24080 00030782
	v_cvt_pk_fp8_f32 v129, v132, v133                          // 000000009604: D2A20081 00030B84
	v_cvt_pk_fp8_f32 v129, v134, v135 op_sel:[0,0,1]           // 00000000960C: D2A24081 00030F86
	v_cvt_pk_fp8_f32 v130, v136, v137                          // 000000009614: D2A20082 00031388
	v_cvt_pk_fp8_f32 v130, v138, v139 op_sel:[0,0,1]           // 00000000961C: D2A24082 0003178A
	v_cvt_pk_fp8_f32 v131, v140, v141                          // 000000009624: D2A20083 00031B8C
	v_cvt_pk_fp8_f32 v131, v142, v143 op_sel:[0,0,1]           // 00000000962C: D2A24083 00031F8E
	ds_write_b32 v13, v128 offset:25088                        // 000000009634: D81A6200 0000800D
	ds_write_b32 v13, v129 offset:26112                        // 00000000963C: D81A6600 0000810D
	ds_write_b32 v13, v130 offset:27136                        // 000000009644: D81A6A00 0000820D
	ds_write_b32 v13, v131 offset:28160                        // 00000000964C: D81A6E00 0000830D
	v_add_f32_e32 v224, v224, v192                             // 000000009654: 03C181E0
	v_add_f32_e32 v225, v225, v193                             // 000000009658: 03C383E1
	v_add_f32_e32 v226, v226, v194                             // 00000000965C: 03C585E2
	v_add_f32_e32 v227, v227, v195                             // 000000009660: 03C787E3
	v_add_f32_e32 v228, v228, v196                             // 000000009664: 03C989E4
	v_add_f32_e32 v229, v229, v197                             // 000000009668: 03CB8BE5
	v_add_f32_e32 v230, v230, v198                             // 00000000966C: 03CD8DE6
	v_add_f32_e32 v231, v231, v199                             // 000000009670: 03CF8FE7
	v_rcp_f32_e32 v58, v62                                     // 000000009674: 7E74453E
	s_waitcnt lgkmcnt(0)                                       // 000000009678: BF8CC07F
	s_barrier                                                  // 00000000967C: BF8A0000
	ds_read_b64 v[128:129], v12 offset:25088                   // 000000009680: D8EC6200 8000000C
	ds_read_b64 v[130:131], v12 offset:25216                   // 000000009688: D8EC6280 8200000C
	ds_read_b64 v[132:133], v12 offset:26112                   // 000000009690: D8EC6600 8400000C
	ds_read_b64 v[134:135], v12 offset:26240                   // 000000009698: D8EC6680 8600000C
	ds_read_b64 v[136:137], v12 offset:27136                   // 0000000096A0: D8EC6A00 8800000C
	ds_read_b64 v[138:139], v12 offset:27264                   // 0000000096A8: D8EC6A80 8A00000C
	ds_read_b64 v[140:141], v12 offset:28160                   // 0000000096B0: D8EC6E00 8C00000C
	ds_read_b64 v[142:143], v12 offset:28288                   // 0000000096B8: D8EC6E80 8E00000C
	s_waitcnt vmcnt(0)                                         // 0000000096C0: BF8C0F70
	s_barrier                                                  // 0000000096C4: BF8A0000
	s_waitcnt lgkmcnt(7)                                       // 0000000096C8: BF8CC77F
	v_mfma_f32_16x16x32_fp8_fp8 v[192:195], a[64:65], v[128:129], 0// 0000000096CC: D3F300C0 0A030140
	s_waitcnt lgkmcnt(6)                                       // 0000000096D4: BF8CC67F
	v_mfma_f32_16x16x32_fp8_fp8 v[192:195], a[66:67], v[130:131], v[192:195]// 0000000096D8: D3F300C0 0F030542
	s_waitcnt lgkmcnt(5)                                       // 0000000096E0: BF8CC57F
	v_mfma_f32_16x16x32_fp8_fp8 v[192:195], a[68:69], v[132:133], v[192:195]// 0000000096E4: D3F300C0 0F030944
	s_waitcnt lgkmcnt(4)                                       // 0000000096EC: BF8CC47F
	v_mfma_f32_16x16x32_fp8_fp8 v[192:195], a[70:71], v[134:135], v[192:195]// 0000000096F0: D3F300C0 0F030D46
	s_waitcnt lgkmcnt(3)                                       // 0000000096F8: BF8CC37F
	v_mfma_f32_16x16x32_fp8_fp8 v[192:195], a[72:73], v[136:137], v[192:195]// 0000000096FC: D3F300C0 0F031148
	s_waitcnt lgkmcnt(2)                                       // 000000009704: BF8CC27F
	v_mfma_f32_16x16x32_fp8_fp8 v[192:195], a[74:75], v[138:139], v[192:195]// 000000009708: D3F300C0 0F03154A
	s_waitcnt lgkmcnt(1)                                       // 000000009710: BF8CC17F
	v_mfma_f32_16x16x32_fp8_fp8 v[192:195], a[76:77], v[140:141], v[192:195]// 000000009714: D3F300C0 0F03194C
	s_waitcnt lgkmcnt(0)                                       // 00000000971C: BF8CC07F
	v_mfma_f32_16x16x32_fp8_fp8 v[192:195], a[78:79], v[142:143], v[192:195]// 000000009720: D3F300C0 0F031D4E
	v_mfma_f32_16x16x32_fp8_fp8 v[196:199], a[80:81], v[128:129], 0// 000000009728: D3F300C4 0A030150
	v_mfma_f32_16x16x32_fp8_fp8 v[196:199], a[82:83], v[130:131], v[196:199]// 000000009730: D3F300C4 0F130552
	v_mfma_f32_16x16x32_fp8_fp8 v[196:199], a[84:85], v[132:133], v[196:199]// 000000009738: D3F300C4 0F130954
	v_mfma_f32_16x16x32_fp8_fp8 v[196:199], a[86:87], v[134:135], v[196:199]// 000000009740: D3F300C4 0F130D56
	v_mfma_f32_16x16x32_fp8_fp8 v[196:199], a[88:89], v[136:137], v[196:199]// 000000009748: D3F300C4 0F131158
	v_mfma_f32_16x16x32_fp8_fp8 v[196:199], a[90:91], v[138:139], v[196:199]// 000000009750: D3F300C4 0F13155A
	v_mfma_f32_16x16x32_fp8_fp8 v[196:199], a[92:93], v[140:141], v[196:199]// 000000009758: D3F300C4 0F13195C
	v_mfma_f32_16x16x32_fp8_fp8 v[196:199], a[94:95], v[142:143], v[196:199]// 000000009760: D3F300C4 0F131D5E
	s_nop 4                                                    // 000000009768: BF800004
	s_branch label_2050                                        // 00000000976C: BF8202F4

0000000000009770 <label_1D5C>:
	s_waitcnt vmcnt(8) lgkmcnt(0)                              // 000000009770: BF8C0078
	s_barrier                                                  // 000000009774: BF8A0000
	v_mfma_f32_16x16x32_fp8_fp8 v[128:131], a[32:33], v[96:97], 0// 000000009778: D3F30080 0A02C120
	v_mfma_f32_16x16x32_fp8_fp8 v[128:131], a[34:35], v[98:99], v[128:131]// 000000009780: D3F30080 0E02C522
	v_mfma_f32_16x16x32_fp8_fp8 v[128:131], a[36:37], v[100:101], v[128:131]// 000000009788: D3F30080 0E02C924
	v_mfma_f32_16x16x32_fp8_fp8 v[128:131], a[38:39], v[102:103], v[128:131]// 000000009790: D3F30080 0E02CD26
	v_mfma_f32_16x16x32_fp8_fp8 v[132:135], a[40:41], v[96:97], 0// 000000009798: D3F30084 0A02C128
	v_mfma_f32_16x16x32_fp8_fp8 v[132:135], a[42:43], v[98:99], v[132:135]// 0000000097A0: D3F30084 0E12C52A
	v_mfma_f32_16x16x32_fp8_fp8 v[132:135], a[44:45], v[100:101], v[132:135]// 0000000097A8: D3F30084 0E12C92C
	v_mfma_f32_16x16x32_fp8_fp8 v[132:135], a[46:47], v[102:103], v[132:135]// 0000000097B0: D3F30084 0E12CD2E
	v_mfma_f32_16x16x32_fp8_fp8 v[136:139], a[48:49], v[96:97], 0// 0000000097B8: D3F30088 0A02C130
	v_mfma_f32_16x16x32_fp8_fp8 v[136:139], a[50:51], v[98:99], v[136:139]// 0000000097C0: D3F30088 0E22C532
	v_mfma_f32_16x16x32_fp8_fp8 v[136:139], a[52:53], v[100:101], v[136:139]// 0000000097C8: D3F30088 0E22C934
	v_mfma_f32_16x16x32_fp8_fp8 v[136:139], a[54:55], v[102:103], v[136:139]// 0000000097D0: D3F30088 0E22CD36
	v_mfma_f32_16x16x32_fp8_fp8 v[140:143], a[56:57], v[96:97], 0// 0000000097D8: D3F3008C 0A02C138
	v_mfma_f32_16x16x32_fp8_fp8 v[140:143], a[58:59], v[98:99], v[140:143]// 0000000097E0: D3F3008C 0E32C53A
	v_mfma_f32_16x16x32_fp8_fp8 v[140:143], a[60:61], v[100:101], v[140:143]// 0000000097E8: D3F3008C 0E32C93C
	v_mfma_f32_16x16x32_fp8_fp8 v[140:143], a[62:63], v[102:103], v[140:143]// 0000000097F0: D3F3008C 0E32CD3E
	v_mov_b32_dpp v41, v53 row_shr:4 row_mask:0xf bank_mask:0xf// 0000000097F8: 7E5202FA FF011435
	v_mov_b32_dpp v42, v53 row_shl:4 row_mask:0xf bank_mask:0xf// 000000009800: 7E5402FA FF010435
	v_cndmask_b32_e64 v248, v53, v41, s[44:45]                 // 000000009808: D10000F8 00B25335
	v_cndmask_b32_e64 v249, v42, v53, s[44:45]                 // 000000009810: D10000F9 00B26B2A
	v_mov_b32_dpp v41, v248 row_shr:8 row_mask:0xf bank_mask:0xf// 000000009818: 7E5202FA FF0118F8
	v_mov_b32_dpp v42, v248 row_shl:8 row_mask:0xf bank_mask:0xf// 000000009820: 7E5402FA FF0108F8
	v_mov_b32_dpp v43, v249 row_shr:8 row_mask:0xf bank_mask:0xf// 000000009828: 7E5602FA FF0118F9
	v_mov_b32_dpp v44, v249 row_shl:8 row_mask:0xf bank_mask:0xf// 000000009830: 7E5802FA FF0108F9
	v_mov_b32_e32 v45, v248                                    // 000000009838: 7E5A03F8
	v_mov_b32_e32 v46, v249                                    // 00000000983C: 7E5C03F9
	v_cndmask_b32_e64 v248, v45, v41, s[42:43]                 // 000000009840: D10000F8 00AA532D
	v_cndmask_b32_e64 v250, v45, v42, s[78:79]                 // 000000009848: D10000FA 013A552D
	v_cndmask_b32_e64 v249, v46, v43, s[42:43]                 // 000000009850: D10000F9 00AA572E
	v_cndmask_b32_e64 v251, v46, v44, s[78:79]                 // 000000009858: D10000FB 013A592E
	v_mov_b32_dpp v41, v73 row_shr:4 row_mask:0xf bank_mask:0xf// 000000009860: 7E5202FA FF011449
	v_mov_b32_dpp v42, v73 row_shl:4 row_mask:0xf bank_mask:0xf// 000000009868: 7E5402FA FF010449
	v_cndmask_b32_e64 v252, v73, v41, s[44:45]                 // 000000009870: D10000FC 00B25349
	v_cndmask_b32_e64 v253, v42, v73, s[44:45]                 // 000000009878: D10000FD 00B2932A
	v_mov_b32_dpp v41, v252 row_shr:8 row_mask:0xf bank_mask:0xf// 000000009880: 7E5202FA FF0118FC
	v_mov_b32_dpp v42, v252 row_shl:8 row_mask:0xf bank_mask:0xf// 000000009888: 7E5402FA FF0108FC
	v_mov_b32_dpp v43, v253 row_shr:8 row_mask:0xf bank_mask:0xf// 000000009890: 7E5602FA FF0118FD
	v_mov_b32_dpp v44, v253 row_shl:8 row_mask:0xf bank_mask:0xf// 000000009898: 7E5802FA FF0108FD
	v_mov_b32_e32 v45, v252                                    // 0000000098A0: 7E5A03FC
	v_mov_b32_e32 v46, v253                                    // 0000000098A4: 7E5C03FD
	v_cndmask_b32_e64 v252, v45, v41, s[42:43]                 // 0000000098A8: D10000FC 00AA532D
	v_cndmask_b32_e64 v254, v45, v42, s[78:79]                 // 0000000098B0: D10000FE 013A552D
	v_cndmask_b32_e64 v253, v46, v43, s[42:43]                 // 0000000098B8: D10000FD 00AA572E
	v_cndmask_b32_e64 v255, v46, v44, s[78:79]                 // 0000000098C0: D10000FF 013A592E
	v_mul_f32_e32 v128, v54, v128                              // 0000000098C8: 0B010136
	v_mul_f32_e32 v129, v54, v129                              // 0000000098CC: 0B030336
	v_mul_f32_e32 v130, v54, v130                              // 0000000098D0: 0B050536
	v_mul_f32_e32 v131, v54, v131                              // 0000000098D4: 0B070736
	v_mul_f32_e32 v132, v54, v132                              // 0000000098D8: 0B090936
	v_mul_f32_e32 v133, v54, v133                              // 0000000098DC: 0B0B0B36
	v_mul_f32_e32 v134, v54, v134                              // 0000000098E0: 0B0D0D36
	v_mul_f32_e32 v135, v54, v135                              // 0000000098E4: 0B0F0F36
	v_mul_f32_e32 v136, v54, v136                              // 0000000098E8: 0B111136
	v_mul_f32_e32 v137, v54, v137                              // 0000000098EC: 0B131336
	v_mul_f32_e32 v138, v54, v138                              // 0000000098F0: 0B151536
	v_mul_f32_e32 v139, v54, v139                              // 0000000098F4: 0B171736
	v_mul_f32_e32 v140, v54, v140                              // 0000000098F8: 0B191936
	v_mul_f32_e32 v141, v54, v141                              // 0000000098FC: 0B1B1B36
	v_mul_f32_e32 v142, v54, v142                              // 000000009900: 0B1D1D36
	v_mul_f32_e32 v143, v54, v143                              // 000000009904: 0B1F1F36
	v_mul_f32_dpp v128, v248, v128 quad_perm:[0,0,0,0] row_mask:0xf bank_mask:0xf// 000000009908: 0B0100FA FF0000F8
	v_mul_f32_dpp v129, v248, v129 quad_perm:[1,1,1,1] row_mask:0xf bank_mask:0xf// 000000009910: 0B0302FA FF0055F8
	v_mul_f32_dpp v130, v248, v130 quad_perm:[2,2,2,2] row_mask:0xf bank_mask:0xf// 000000009918: 0B0504FA FF00AAF8
	v_mul_f32_dpp v131, v248, v131 quad_perm:[3,3,3,3] row_mask:0xf bank_mask:0xf// 000000009920: 0B0706FA FF00FFF8
	v_mul_f32_dpp v132, v249, v132 quad_perm:[0,0,0,0] row_mask:0xf bank_mask:0xf// 000000009928: 0B0908FA FF0000F9
	v_mul_f32_dpp v133, v249, v133 quad_perm:[1,1,1,1] row_mask:0xf bank_mask:0xf// 000000009930: 0B0B0AFA FF0055F9
	v_mul_f32_dpp v134, v249, v134 quad_perm:[2,2,2,2] row_mask:0xf bank_mask:0xf// 000000009938: 0B0D0CFA FF00AAF9
	v_mul_f32_dpp v135, v249, v135 quad_perm:[3,3,3,3] row_mask:0xf bank_mask:0xf// 000000009940: 0B0F0EFA FF00FFF9
	v_mul_f32_dpp v136, v250, v136 quad_perm:[0,0,0,0] row_mask:0xf bank_mask:0xf// 000000009948: 0B1110FA FF0000FA
	v_mul_f32_dpp v137, v250, v137 quad_perm:[1,1,1,1] row_mask:0xf bank_mask:0xf// 000000009950: 0B1312FA FF0055FA
	v_mul_f32_dpp v138, v250, v138 quad_perm:[2,2,2,2] row_mask:0xf bank_mask:0xf// 000000009958: 0B1514FA FF00AAFA
	v_mul_f32_dpp v139, v250, v139 quad_perm:[3,3,3,3] row_mask:0xf bank_mask:0xf// 000000009960: 0B1716FA FF00FFFA
	v_mul_f32_dpp v140, v251, v140 quad_perm:[0,0,0,0] row_mask:0xf bank_mask:0xf// 000000009968: 0B1918FA FF0000FB
	v_mul_f32_dpp v141, v251, v141 quad_perm:[1,1,1,1] row_mask:0xf bank_mask:0xf// 000000009970: 0B1B1AFA FF0055FB
	v_mul_f32_dpp v142, v251, v142 quad_perm:[2,2,2,2] row_mask:0xf bank_mask:0xf// 000000009978: 0B1D1CFA FF00AAFB
	v_mul_f32_dpp v143, v251, v143 quad_perm:[3,3,3,3] row_mask:0xf bank_mask:0xf// 000000009980: 0B1F1EFA FF00FFFB
	s_cmp_le_i32 s90, s89                                      // 000000009988: BF05595A
	s_cbranch_scc1 label_1E57                                  // 00000000998C: BF850073
	v_mov_b32_e32 v69, 0xff800000                              // 000000009990: 7E8A02FF FF800000
	s_mov_b32 s60, s90                                         // 000000009998: BEBC005A
	s_add_u32 s61, s89, 0xff                                   // 00000000999C: 803DFF59 000000FF
	v_mov_b32_e32 v41, s61                                     // 0000000099A4: 7E52023D
	v_lshrrev_b32_e32 v240, 4, v0                              // 0000000099A8: 21E00084
	v_mul_i32_i24_e32 v240, 4, v240                            // 0000000099AC: 0DE1E084
	v_add_u32_e32 v240, s60, v240                              // 0000000099B0: 69E1E03C
	v_and_b32_e32 v42, 15, v0                                  // 0000000099B4: 2654008F
	v_lshrrev_b32_e32 v42, 3, v42                              // 0000000099B8: 20545483
	s_mov_b32 s61, 0                                           // 0000000099BC: BEBD0080
	s_mul_i32 s60, 16, s7                                      // 0000000099C0: 923C0790
	v_add_u32_e32 v42, s61, v42                                // 0000000099C4: 6854543D
	v_sub_u32_e32 v240, v240, v42                              // 0000000099C8: 6BE055F0
	v_add_u32_e32 v240, s60, v240                              // 0000000099CC: 69E1E03C
	v_add_u32_e32 v241, 1, v240                                // 0000000099D0: 69E3E081
	v_add_u32_e32 v242, 2, v240                                // 0000000099D4: 69E5E082
	v_add_u32_e32 v243, 3, v240                                // 0000000099D8: 69E7E083
	v_cmp_le_u32_e64 s[40:41], v240, v41                       // 0000000099DC: D0CB0028 000253F0
	v_add_u32_e32 v240, 64, v240                               // 0000000099E4: 69E1E0C0
	s_nop 0                                                    // 0000000099E8: BF800000
	v_cndmask_b32_e64 v128, v69, v128, s[40:41]                // 0000000099EC: D1000080 00A30145
	v_cmp_le_u32_e64 s[40:41], v241, v41                       // 0000000099F4: D0CB0028 000253F1
	v_add_u32_e32 v241, 64, v241                               // 0000000099FC: 69E3E2C0
	s_nop 0                                                    // 000000009A00: BF800000
	v_cndmask_b32_e64 v129, v69, v129, s[40:41]                // 000000009A04: D1000081 00A30345
	v_cmp_le_u32_e64 s[40:41], v242, v41                       // 000000009A0C: D0CB0028 000253F2
	v_add_u32_e32 v242, 64, v242                               // 000000009A14: 69E5E4C0
	s_nop 0                                                    // 000000009A18: BF800000
	v_cndmask_b32_e64 v130, v69, v130, s[40:41]                // 000000009A1C: D1000082 00A30545
	v_cmp_le_u32_e64 s[40:41], v243, v41                       // 000000009A24: D0CB0028 000253F3
	v_add_u32_e32 v243, 64, v243                               // 000000009A2C: 69E7E6C0
	s_nop 0                                                    // 000000009A30: BF800000
	v_cndmask_b32_e64 v131, v69, v131, s[40:41]                // 000000009A34: D1000083 00A30745
	v_cmp_le_u32_e64 s[40:41], v240, v41                       // 000000009A3C: D0CB0028 000253F0
	v_add_u32_e32 v240, 64, v240                               // 000000009A44: 69E1E0C0
	s_nop 0                                                    // 000000009A48: BF800000
	v_cndmask_b32_e64 v132, v69, v132, s[40:41]                // 000000009A4C: D1000084 00A30945
	v_cmp_le_u32_e64 s[40:41], v241, v41                       // 000000009A54: D0CB0028 000253F1
	v_add_u32_e32 v241, 64, v241                               // 000000009A5C: 69E3E2C0
	s_nop 0                                                    // 000000009A60: BF800000
	v_cndmask_b32_e64 v133, v69, v133, s[40:41]                // 000000009A64: D1000085 00A30B45
	v_cmp_le_u32_e64 s[40:41], v242, v41                       // 000000009A6C: D0CB0028 000253F2
	v_add_u32_e32 v242, 64, v242                               // 000000009A74: 69E5E4C0
	s_nop 0                                                    // 000000009A78: BF800000
	v_cndmask_b32_e64 v134, v69, v134, s[40:41]                // 000000009A7C: D1000086 00A30D45
	v_cmp_le_u32_e64 s[40:41], v243, v41                       // 000000009A84: D0CB0028 000253F3
	v_add_u32_e32 v243, 64, v243                               // 000000009A8C: 69E7E6C0
	s_nop 0                                                    // 000000009A90: BF800000
	v_cndmask_b32_e64 v135, v69, v135, s[40:41]                // 000000009A94: D1000087 00A30F45
	v_cmp_le_u32_e64 s[40:41], v240, v41                       // 000000009A9C: D0CB0028 000253F0
	v_add_u32_e32 v240, 64, v240                               // 000000009AA4: 69E1E0C0
	s_nop 0                                                    // 000000009AA8: BF800000
	v_cndmask_b32_e64 v136, v69, v136, s[40:41]                // 000000009AAC: D1000088 00A31145
	v_cmp_le_u32_e64 s[40:41], v241, v41                       // 000000009AB4: D0CB0028 000253F1
	v_add_u32_e32 v241, 64, v241                               // 000000009ABC: 69E3E2C0
	s_nop 0                                                    // 000000009AC0: BF800000
	v_cndmask_b32_e64 v137, v69, v137, s[40:41]                // 000000009AC4: D1000089 00A31345
	v_cmp_le_u32_e64 s[40:41], v242, v41                       // 000000009ACC: D0CB0028 000253F2
	v_add_u32_e32 v242, 64, v242                               // 000000009AD4: 69E5E4C0
	s_nop 0                                                    // 000000009AD8: BF800000
	v_cndmask_b32_e64 v138, v69, v138, s[40:41]                // 000000009ADC: D100008A 00A31545
	v_cmp_le_u32_e64 s[40:41], v243, v41                       // 000000009AE4: D0CB0028 000253F3
	v_add_u32_e32 v243, 64, v243                               // 000000009AEC: 69E7E6C0
	s_nop 0                                                    // 000000009AF0: BF800000
	v_cndmask_b32_e64 v139, v69, v139, s[40:41]                // 000000009AF4: D100008B 00A31745
	v_cmp_le_u32_e64 s[40:41], v240, v41                       // 000000009AFC: D0CB0028 000253F0
	v_add_u32_e32 v240, 64, v240                               // 000000009B04: 69E1E0C0
	s_nop 0                                                    // 000000009B08: BF800000
	v_cndmask_b32_e64 v140, v69, v140, s[40:41]                // 000000009B0C: D100008C 00A31945
	v_cmp_le_u32_e64 s[40:41], v241, v41                       // 000000009B14: D0CB0028 000253F1
	v_add_u32_e32 v241, 64, v241                               // 000000009B1C: 69E3E2C0
	s_nop 0                                                    // 000000009B20: BF800000
	v_cndmask_b32_e64 v141, v69, v141, s[40:41]                // 000000009B24: D100008D 00A31B45
	v_cmp_le_u32_e64 s[40:41], v242, v41                       // 000000009B2C: D0CB0028 000253F2
	v_add_u32_e32 v242, 64, v242                               // 000000009B34: 69E5E4C0
	s_nop 0                                                    // 000000009B38: BF800000
	v_cndmask_b32_e64 v142, v69, v142, s[40:41]                // 000000009B3C: D100008E 00A31D45
	v_cmp_le_u32_e64 s[40:41], v243, v41                       // 000000009B44: D0CB0028 000253F3
	v_add_u32_e32 v243, 64, v243                               // 000000009B4C: 69E7E6C0
	s_nop 0                                                    // 000000009B50: BF800000
	v_cndmask_b32_e64 v143, v69, v143, s[40:41]                // 000000009B54: D100008F 00A31F45

0000000000009b5c <label_1E57>:
	s_add_u32 s90, s91, s90                                    // 000000009B5C: 805A5A5B
	s_and_b32 s60, s72, 0xff                                   // 000000009B60: 863CFF48 000000FF
	v_mov_b32_e32 v42, s60                                     // 000000009B68: 7E54023C
	v_lshrrev_b32_e32 v240, 4, v0                              // 000000009B6C: 21E00084
	v_mul_i32_i24_e32 v240, 4, v240                            // 000000009B70: 0DE1E084
	s_mul_i32 s60, s7, 16                                      // 000000009B74: 923C9007
	v_add_u32_e32 v240, s60, v240                              // 000000009B78: 69E1E03C
	v_add_u32_e32 v241, 1, v240                                // 000000009B7C: 69E3E081
	v_add_u32_e32 v242, 2, v240                                // 000000009B80: 69E5E082
	v_add_u32_e32 v243, 3, v240                                // 000000009B84: 69E7E083
	v_mov_b32_e32 v41, 0xff800000                              // 000000009B88: 7E5202FF FF800000
	v_cmp_lt_u32_e64 s[40:41], v240, v42                       // 000000009B90: D0C90028 000255F0
	v_add_u32_e32 v240, 64, v240                               // 000000009B98: 69E1E0C0
	s_nop 0                                                    // 000000009B9C: BF800000
	v_cndmask_b32_e64 v128, v41, v128, s[40:41]                // 000000009BA0: D1000080 00A30129
	v_cmp_lt_u32_e64 s[40:41], v241, v42                       // 000000009BA8: D0C90028 000255F1
	v_add_u32_e32 v241, 64, v241                               // 000000009BB0: 69E3E2C0
	s_nop 0                                                    // 000000009BB4: BF800000
	v_cndmask_b32_e64 v129, v41, v129, s[40:41]                // 000000009BB8: D1000081 00A30329
	v_cmp_lt_u32_e64 s[40:41], v242, v42                       // 000000009BC0: D0C90028 000255F2
	v_add_u32_e32 v242, 64, v242                               // 000000009BC8: 69E5E4C0
	s_nop 0                                                    // 000000009BCC: BF800000
	v_cndmask_b32_e64 v130, v41, v130, s[40:41]                // 000000009BD0: D1000082 00A30529
	v_cmp_lt_u32_e64 s[40:41], v243, v42                       // 000000009BD8: D0C90028 000255F3
	v_add_u32_e32 v243, 64, v243                               // 000000009BE0: 69E7E6C0
	s_nop 0                                                    // 000000009BE4: BF800000
	v_cndmask_b32_e64 v131, v41, v131, s[40:41]                // 000000009BE8: D1000083 00A30729
	v_cmp_lt_u32_e64 s[40:41], v240, v42                       // 000000009BF0: D0C90028 000255F0
	v_add_u32_e32 v240, 64, v240                               // 000000009BF8: 69E1E0C0
	s_nop 0                                                    // 000000009BFC: BF800000
	v_cndmask_b32_e64 v132, v41, v132, s[40:41]                // 000000009C00: D1000084 00A30929
	v_cmp_lt_u32_e64 s[40:41], v241, v42                       // 000000009C08: D0C90028 000255F1
	v_add_u32_e32 v241, 64, v241                               // 000000009C10: 69E3E2C0
	s_nop 0                                                    // 000000009C14: BF800000
	v_cndmask_b32_e64 v133, v41, v133, s[40:41]                // 000000009C18: D1000085 00A30B29
	v_cmp_lt_u32_e64 s[40:41], v242, v42                       // 000000009C20: D0C90028 000255F2
	v_add_u32_e32 v242, 64, v242                               // 000000009C28: 69E5E4C0
	s_nop 0                                                    // 000000009C2C: BF800000
	v_cndmask_b32_e64 v134, v41, v134, s[40:41]                // 000000009C30: D1000086 00A30D29
	v_cmp_lt_u32_e64 s[40:41], v243, v42                       // 000000009C38: D0C90028 000255F3
	v_add_u32_e32 v243, 64, v243                               // 000000009C40: 69E7E6C0
	s_nop 0                                                    // 000000009C44: BF800000
	v_cndmask_b32_e64 v135, v41, v135, s[40:41]                // 000000009C48: D1000087 00A30F29
	v_cmp_lt_u32_e64 s[40:41], v240, v42                       // 000000009C50: D0C90028 000255F0
	v_add_u32_e32 v240, 64, v240                               // 000000009C58: 69E1E0C0
	s_nop 0                                                    // 000000009C5C: BF800000
	v_cndmask_b32_e64 v136, v41, v136, s[40:41]                // 000000009C60: D1000088 00A31129
	v_cmp_lt_u32_e64 s[40:41], v241, v42                       // 000000009C68: D0C90028 000255F1
	v_add_u32_e32 v241, 64, v241                               // 000000009C70: 69E3E2C0
	s_nop 0                                                    // 000000009C74: BF800000
	v_cndmask_b32_e64 v137, v41, v137, s[40:41]                // 000000009C78: D1000089 00A31329
	v_cmp_lt_u32_e64 s[40:41], v242, v42                       // 000000009C80: D0C90028 000255F2
	v_add_u32_e32 v242, 64, v242                               // 000000009C88: 69E5E4C0
	s_nop 0                                                    // 000000009C8C: BF800000
	v_cndmask_b32_e64 v138, v41, v138, s[40:41]                // 000000009C90: D100008A 00A31529
	v_cmp_lt_u32_e64 s[40:41], v243, v42                       // 000000009C98: D0C90028 000255F3
	v_add_u32_e32 v243, 64, v243                               // 000000009CA0: 69E7E6C0
	s_nop 0                                                    // 000000009CA4: BF800000
	v_cndmask_b32_e64 v139, v41, v139, s[40:41]                // 000000009CA8: D100008B 00A31729
	v_cmp_lt_u32_e64 s[40:41], v240, v42                       // 000000009CB0: D0C90028 000255F0
	v_add_u32_e32 v240, 64, v240                               // 000000009CB8: 69E1E0C0
	s_nop 0                                                    // 000000009CBC: BF800000
	v_cndmask_b32_e64 v140, v41, v140, s[40:41]                // 000000009CC0: D100008C 00A31929
	v_cmp_lt_u32_e64 s[40:41], v241, v42                       // 000000009CC8: D0C90028 000255F1
	v_add_u32_e32 v241, 64, v241                               // 000000009CD0: 69E3E2C0
	s_nop 0                                                    // 000000009CD4: BF800000
	v_cndmask_b32_e64 v141, v41, v141, s[40:41]                // 000000009CD8: D100008D 00A31B29
	v_cmp_lt_u32_e64 s[40:41], v242, v42                       // 000000009CE0: D0C90028 000255F2
	v_add_u32_e32 v242, 64, v242                               // 000000009CE8: 69E5E4C0
	s_nop 0                                                    // 000000009CEC: BF800000
	v_cndmask_b32_e64 v142, v41, v142, s[40:41]                // 000000009CF0: D100008E 00A31D29
	v_cmp_lt_u32_e64 s[40:41], v243, v42                       // 000000009CF8: D0C90028 000255F3
	v_add_u32_e32 v243, 64, v243                               // 000000009D00: 69E7E6C0
	s_nop 0                                                    // 000000009D04: BF800000
	v_cndmask_b32_e64 v143, v41, v143, s[40:41]                // 000000009D08: D100008F 00A31F29
	v_mov_b32_e32 v62, v128                                    // 000000009D10: 7E7C0380
	v_max3_f32 v62, v128, v129, v62                            // 000000009D14: D1D3003E 04FB0380
	v_max3_f32 v62, v130, v131, v62                            // 000000009D1C: D1D3003E 04FB0782
	v_max3_f32 v62, v132, v133, v62                            // 000000009D24: D1D3003E 04FB0B84
	v_max3_f32 v62, v134, v135, v62                            // 000000009D2C: D1D3003E 04FB0F86
	v_max3_f32 v62, v136, v137, v62                            // 000000009D34: D1D3003E 04FB1388
	v_max3_f32 v62, v138, v139, v62                            // 000000009D3C: D1D3003E 04FB178A
	v_max3_f32 v62, v140, v141, v62                            // 000000009D44: D1D3003E 04FB1B8C
	v_max3_f32 v62, v142, v143, v62                            // 000000009D4C: D1D3003E 04FB1F8E
	ds_write_b32 v11, v62 offset:16896                         // 000000009D54: D81A4200 00003E0B
	v_mul_u32_u24_dpp v41, v19, v68 row_newbcast:1 row_mask:0xf bank_mask:0xf// 000000009D5C: 105288FA FF015113
	v_mul_u32_u24_dpp v42, v19, v68 row_newbcast:5 row_mask:0xf bank_mask:0xf// 000000009D64: 105488FA FF015513
	v_mul_u32_u24_dpp v43, v19, v68 row_newbcast:9 row_mask:0xf bank_mask:0xf// 000000009D6C: 105688FA FF015913
	v_mul_u32_u24_dpp v44, v19, v68 row_newbcast:13 row_mask:0xf bank_mask:0xf// 000000009D74: 105888FA FF015D13
	v_add_u32_e32 v33, v41, v7                                 // 000000009D7C: 68420F29
	v_add_u32_e32 v34, v42, v7                                 // 000000009D80: 68440F2A
	v_add_u32_e32 v35, v43, v7                                 // 000000009D84: 68460F2B
	v_add_u32_e32 v36, v44, v7                                 // 000000009D88: 68480F2C
	v_mul_f32_e32 v224, v63, v224                              // 000000009D8C: 0BC1C13F
	v_mul_f32_e32 v225, v63, v225                              // 000000009D90: 0BC3C33F
	v_mul_f32_e32 v226, v63, v226                              // 000000009D94: 0BC5C53F
	v_mul_f32_e32 v227, v63, v227                              // 000000009D98: 0BC7C73F
	v_mul_f32_e32 v228, v63, v228                              // 000000009D9C: 0BC9C93F
	v_mul_f32_e32 v229, v63, v229                              // 000000009DA0: 0BCBCB3F
	v_mul_f32_e32 v230, v63, v230                              // 000000009DA4: 0BCDCD3F
	v_mul_f32_e32 v231, v63, v231                              // 000000009DA8: 0BCFCF3F
	s_waitcnt lgkmcnt(0)                                       // 000000009DAC: BF8CC07F
	s_barrier                                                  // 000000009DB0: BF8A0000
	ds_read_b32 v80, v10 offset:16896                          // 000000009DB4: D86C4200 5000000A
	ds_read_b32 v81, v10 offset:16960                          // 000000009DBC: D86C4240 5100000A
	ds_read_b32 v82, v10 offset:17024                          // 000000009DC4: D86C4280 5200000A
	ds_read_b32 v83, v10 offset:17088                          // 000000009DCC: D86C42C0 5300000A
	ds_read_b32 v84, v10 offset:17152                          // 000000009DD4: D86C4300 5400000A
	ds_read_b32 v85, v10 offset:17216                          // 000000009DDC: D86C4340 5500000A
	ds_read_b32 v86, v10 offset:17280                          // 000000009DE4: D86C4380 5600000A
	ds_read_b32 v87, v10 offset:17344                          // 000000009DEC: D86C43C0 5700000A
	ds_read_b32 v88, v10 offset:17408                          // 000000009DF4: D86C4400 5800000A
	ds_read_b32 v89, v10 offset:17472                          // 000000009DFC: D86C4440 5900000A
	ds_read_b32 v90, v10 offset:17536                          // 000000009E04: D86C4480 5A00000A
	ds_read_b32 v91, v10 offset:17600                          // 000000009E0C: D86C44C0 5B00000A
	ds_read_b32 v92, v10 offset:17664                          // 000000009E14: D86C4500 5C00000A
	ds_read_b32 v93, v10 offset:17728                          // 000000009E1C: D86C4540 5D00000A
	ds_read_b32 v94, v10 offset:17792                          // 000000009E24: D86C4580 5E00000A
	ds_read_b32 v95, v10 offset:17856                          // 000000009E2C: D86C45C0 5F00000A
	v_mul_f32_e32 v192, v58, v192                              // 000000009E34: 0B81813A
	v_mul_f32_e32 v193, v58, v193                              // 000000009E38: 0B83833A
	v_mul_f32_e32 v194, v58, v194                              // 000000009E3C: 0B85853A
	v_mul_f32_e32 v195, v58, v195                              // 000000009E40: 0B87873A
	v_mul_f32_e32 v196, v58, v196                              // 000000009E44: 0B89893A
	v_mul_f32_e32 v197, v58, v197                              // 000000009E48: 0B8B8B3A
	v_mul_f32_e32 v198, v58, v198                              // 000000009E4C: 0B8D8D3A
	v_mul_f32_e32 v199, v58, v199                              // 000000009E50: 0B8F8F3A
	s_waitcnt lgkmcnt(0)                                       // 000000009E54: BF8CC07F
	v_max3_f32 v62, v80, v81, v62                              // 000000009E58: D1D3003E 04FAA350
	v_max3_f32 v62, v82, v83, v62                              // 000000009E60: D1D3003E 04FAA752
	v_max3_f32 v62, v84, v85, v62                              // 000000009E68: D1D3003E 04FAAB54
	v_max3_f32 v62, v86, v87, v62                              // 000000009E70: D1D3003E 04FAAF56
	v_max3_f32 v62, v88, v89, v62                              // 000000009E78: D1D3003E 04FAB358
	v_max3_f32 v62, v90, v91, v62                              // 000000009E80: D1D3003E 04FAB75A
	v_max3_f32 v62, v92, v93, v62                              // 000000009E88: D1D3003E 04FABB5C
	v_max3_f32 v62, v94, v95, v62                              // 000000009E90: D1D3003E 04FABF5E
	v_mov_b32_e32 v41, 0xff800000                              // 000000009E98: 7E5202FF FF800000
	v_cmp_eq_u32_e64 s[40:41], v41, v14                        // 000000009EA0: D0CA0028 00021D29
	s_nop 1                                                    // 000000009EA8: BF800001
	v_max_f32_e32 v18, v62, v14                                // 000000009EAC: 16241D3E
	v_mul_f32_e32 v67, s64, v18                                // 000000009EB0: 0A862440
	v_fma_f32 v128, v128, s64, -v67                            // 000000009EB4: D1CB0080 850C8180
	v_fma_f32 v129, v129, s64, -v67                            // 000000009EBC: D1CB0081 850C8181
	v_fma_f32 v130, v130, s64, -v67                            // 000000009EC4: D1CB0082 850C8182
	v_fma_f32 v131, v131, s64, -v67                            // 000000009ECC: D1CB0083 850C8183
	v_fma_f32 v132, v132, s64, -v67                            // 000000009ED4: D1CB0084 850C8184
	v_fma_f32 v133, v133, s64, -v67                            // 000000009EDC: D1CB0085 850C8185
	v_fma_f32 v134, v134, s64, -v67                            // 000000009EE4: D1CB0086 850C8186
	v_fma_f32 v135, v135, s64, -v67                            // 000000009EEC: D1CB0087 850C8187
	v_fma_f32 v136, v136, s64, -v67                            // 000000009EF4: D1CB0088 850C8188
	v_fma_f32 v137, v137, s64, -v67                            // 000000009EFC: D1CB0089 850C8189
	v_fma_f32 v138, v138, s64, -v67                            // 000000009F04: D1CB008A 850C818A
	v_fma_f32 v139, v139, s64, -v67                            // 000000009F0C: D1CB008B 850C818B
	v_fma_f32 v140, v140, s64, -v67                            // 000000009F14: D1CB008C 850C818C
	v_fma_f32 v141, v141, s64, -v67                            // 000000009F1C: D1CB008D 850C818D
	v_fma_f32 v142, v142, s64, -v67                            // 000000009F24: D1CB008E 850C818E
	v_fma_f32 v143, v143, s64, -v67                            // 000000009F2C: D1CB008F 850C818F
	v_exp_f32_e32 v128, v128                                   // 000000009F34: 7F004180
	v_exp_f32_e32 v129, v129                                   // 000000009F38: 7F024181
	v_exp_f32_e32 v130, v130                                   // 000000009F3C: 7F044182
	v_exp_f32_e32 v131, v131                                   // 000000009F40: 7F064183
	v_exp_f32_e32 v132, v132                                   // 000000009F44: 7F084184
	v_exp_f32_e32 v133, v133                                   // 000000009F48: 7F0A4185
	v_exp_f32_e32 v134, v134                                   // 000000009F4C: 7F0C4186
	v_exp_f32_e32 v135, v135                                   // 000000009F50: 7F0E4187
	v_exp_f32_e32 v136, v136                                   // 000000009F54: 7F104188
	v_exp_f32_e32 v137, v137                                   // 000000009F58: 7F124189
	v_exp_f32_e32 v138, v138                                   // 000000009F5C: 7F14418A
	v_exp_f32_e32 v139, v139                                   // 000000009F60: 7F16418B
	v_exp_f32_e32 v140, v140                                   // 000000009F64: 7F18418C
	v_exp_f32_e32 v141, v141                                   // 000000009F68: 7F1A418D
	v_exp_f32_e32 v142, v142                                   // 000000009F6C: 7F1C418E
	v_exp_f32_e32 v143, v143                                   // 000000009F70: 7F1E418F
	v_mul_f32_dpp v240, v252, v128 quad_perm:[0,0,0,0] row_mask:0xf bank_mask:0xf// 000000009F74: 0BE100FA FF0000FC
	v_mul_f32_dpp v241, v252, v129 quad_perm:[1,1,1,1] row_mask:0xf bank_mask:0xf// 000000009F7C: 0BE302FA FF0055FC
	v_mul_f32_dpp v242, v252, v130 quad_perm:[2,2,2,2] row_mask:0xf bank_mask:0xf// 000000009F84: 0BE504FA FF00AAFC
	v_mul_f32_dpp v243, v252, v131 quad_perm:[3,3,3,3] row_mask:0xf bank_mask:0xf// 000000009F8C: 0BE706FA FF00FFFC
	v_mul_f32_dpp v244, v253, v132 quad_perm:[0,0,0,0] row_mask:0xf bank_mask:0xf// 000000009F94: 0BE908FA FF0000FD
	v_mul_f32_dpp v245, v253, v133 quad_perm:[1,1,1,1] row_mask:0xf bank_mask:0xf// 000000009F9C: 0BEB0AFA FF0055FD
	v_mul_f32_dpp v246, v253, v134 quad_perm:[2,2,2,2] row_mask:0xf bank_mask:0xf// 000000009FA4: 0BED0CFA FF00AAFD
	v_mul_f32_dpp v247, v253, v135 quad_perm:[3,3,3,3] row_mask:0xf bank_mask:0xf// 000000009FAC: 0BEF0EFA FF00FFFD
	v_mul_f32_dpp v248, v254, v136 quad_perm:[0,0,0,0] row_mask:0xf bank_mask:0xf// 000000009FB4: 0BF110FA FF0000FE
	v_mul_f32_dpp v249, v254, v137 quad_perm:[1,1,1,1] row_mask:0xf bank_mask:0xf// 000000009FBC: 0BF312FA FF0055FE
	v_mul_f32_dpp v250, v254, v138 quad_perm:[2,2,2,2] row_mask:0xf bank_mask:0xf// 000000009FC4: 0BF514FA FF00AAFE
	v_mul_f32_dpp v251, v254, v139 quad_perm:[3,3,3,3] row_mask:0xf bank_mask:0xf// 000000009FCC: 0BF716FA FF00FFFE
	v_mul_f32_dpp v252, v255, v140 quad_perm:[0,0,0,0] row_mask:0xf bank_mask:0xf// 000000009FD4: 0BF918FA FF0000FF
	v_mul_f32_dpp v253, v255, v141 quad_perm:[1,1,1,1] row_mask:0xf bank_mask:0xf// 000000009FDC: 0BFB1AFA FF0055FF
	v_mul_f32_dpp v254, v255, v142 quad_perm:[2,2,2,2] row_mask:0xf bank_mask:0xf// 000000009FE4: 0BFD1CFA FF00AAFF
	v_mul_f32_dpp v255, v255, v143 quad_perm:[3,3,3,3] row_mask:0xf bank_mask:0xf// 000000009FEC: 0BFF1EFA FF00FFFF
	v_mov_b32_e32 v62, 0x358637bd                              // 000000009FF4: 7E7C02FF 358637BD
	v_max3_f32 v62, |v240|, |v241|, v62                        // 000000009FFC: D1D3033E 04FBE3F0
	v_max3_f32 v62, |v242|, |v243|, v62                        // 00000000A004: D1D3033E 04FBE7F2
	v_max3_f32 v62, |v244|, |v245|, v62                        // 00000000A00C: D1D3033E 04FBEBF4
	v_max3_f32 v62, |v246|, |v247|, v62                        // 00000000A014: D1D3033E 04FBEFF6
	v_max3_f32 v62, |v248|, |v249|, v62                        // 00000000A01C: D1D3033E 04FBF3F8
	v_max3_f32 v62, |v250|, |v251|, v62                        // 00000000A024: D1D3033E 04FBF7FA
	v_max3_f32 v62, |v252|, |v253|, v62                        // 00000000A02C: D1D3033E 04FBFBFC
	v_max3_f32 v62, |v254|, |v255|, v62                        // 00000000A034: D1D3033E 04FBFFFE
	ds_write_b32 v11, v62 offset:20992                         // 00000000A03C: D81A5200 00003E0B
	v_sub_f32_e32 v63, v14, v18                                // 00000000A044: 047E250E
	v_cndmask_b32_e64 v63, v63, 0, s[40:41]                    // 00000000A048: D100003F 00A1013F
	v_mov_b32_e32 v14, v18                                     // 00000000A050: 7E1C0312
	v_mul_f32_e32 v63, s64, v63                                // 00000000A054: 0A7E7E40
	v_exp_f32_e32 v63, v63                                     // 00000000A058: 7E7E413F
	s_waitcnt lgkmcnt(0)                                       // 00000000A05C: BF8CC07F
	s_barrier                                                  // 00000000A060: BF8A0000
	ds_read_b32 v80, v10 offset:20992                          // 00000000A064: D86C5200 5000000A
	ds_read_b32 v81, v10 offset:21056                          // 00000000A06C: D86C5240 5100000A
	ds_read_b32 v82, v10 offset:21120                          // 00000000A074: D86C5280 5200000A
	ds_read_b32 v83, v10 offset:21184                          // 00000000A07C: D86C52C0 5300000A
	ds_read_b32 v84, v10 offset:21248                          // 00000000A084: D86C5300 5400000A
	ds_read_b32 v85, v10 offset:21312                          // 00000000A08C: D86C5340 5500000A
	ds_read_b32 v86, v10 offset:21376                          // 00000000A094: D86C5380 5600000A
	ds_read_b32 v87, v10 offset:21440                          // 00000000A09C: D86C53C0 5700000A
	ds_read_b32 v88, v10 offset:21504                          // 00000000A0A4: D86C5400 5800000A
	ds_read_b32 v89, v10 offset:21568                          // 00000000A0AC: D86C5440 5900000A
	ds_read_b32 v90, v10 offset:21632                          // 00000000A0B4: D86C5480 5A00000A
	ds_read_b32 v91, v10 offset:21696                          // 00000000A0BC: D86C54C0 5B00000A
	ds_read_b32 v92, v10 offset:21760                          // 00000000A0C4: D86C5500 5C00000A
	ds_read_b32 v93, v10 offset:21824                          // 00000000A0CC: D86C5540 5D00000A
	ds_read_b32 v94, v10 offset:21888                          // 00000000A0D4: D86C5580 5E00000A
	ds_read_b32 v95, v10 offset:21952                          // 00000000A0DC: D86C55C0 5F00000A
	v_mul_f32_e32 v47, v63, v47                                // 00000000A0E4: 0A5E5F3F
	v_mov_b32_e32 v18, v128                                    // 00000000A0E8: 7E240380
	v_add_f32_e32 v18, v129, v18                               // 00000000A0EC: 02242581
	v_add_f32_e32 v18, v130, v18                               // 00000000A0F0: 02242582
	v_add_f32_e32 v18, v131, v18                               // 00000000A0F4: 02242583
	v_add_f32_e32 v18, v132, v18                               // 00000000A0F8: 02242584
	v_add_f32_e32 v18, v133, v18                               // 00000000A0FC: 02242585
	v_add_f32_e32 v18, v134, v18                               // 00000000A100: 02242586
	v_add_f32_e32 v18, v135, v18                               // 00000000A104: 02242587
	v_add_f32_e32 v18, v136, v18                               // 00000000A108: 02242588
	v_add_f32_e32 v18, v137, v18                               // 00000000A10C: 02242589
	v_add_f32_e32 v18, v138, v18                               // 00000000A110: 0224258A
	v_add_f32_e32 v18, v139, v18                               // 00000000A114: 0224258B
	v_add_f32_e32 v18, v140, v18                               // 00000000A118: 0224258C
	v_add_f32_e32 v18, v141, v18                               // 00000000A11C: 0224258D
	v_add_f32_e32 v18, v142, v18                               // 00000000A120: 0224258E
	v_add_f32_e32 v18, v143, v18                               // 00000000A124: 0224258F
	v_add_f32_e32 v47, v18, v47                                // 00000000A128: 025E5F12
	s_waitcnt lgkmcnt(0)                                       // 00000000A12C: BF8CC07F
	v_max3_f32 v62, |v80|, |v81|, v62                          // 00000000A130: D1D3033E 04FAA350
	v_max3_f32 v62, |v82|, |v83|, v62                          // 00000000A138: D1D3033E 04FAA752
	v_max3_f32 v62, |v84|, |v85|, v62                          // 00000000A140: D1D3033E 04FAAB54
	v_max3_f32 v62, |v86|, |v87|, v62                          // 00000000A148: D1D3033E 04FAAF56
	v_max3_f32 v62, |v88|, |v89|, v62                          // 00000000A150: D1D3033E 04FAB358
	v_max3_f32 v62, |v90|, |v91|, v62                          // 00000000A158: D1D3033E 04FAB75A
	v_max3_f32 v62, |v92|, |v93|, v62                          // 00000000A160: D1D3033E 04FABB5C
	v_max3_f32 v62, |v94|, |v95|, v62                          // 00000000A168: D1D3033E 04FABF5E
	s_nop 2                                                    // 00000000A170: BF800002
	v_rcp_f32_e32 v62, v62                                     // 00000000A174: 7E7C453E
	s_nop 1                                                    // 00000000A178: BF800001
	v_mul_f32_e32 v62, 0x43e00000, v62                         // 00000000A17C: 0A7C7CFF 43E00000
	v_mul_f32_e32 v128, v62, v240                              // 00000000A184: 0B01E13E
	v_mul_f32_e32 v129, v62, v241                              // 00000000A188: 0B03E33E
	v_mul_f32_e32 v130, v62, v242                              // 00000000A18C: 0B05E53E
	v_mul_f32_e32 v131, v62, v243                              // 00000000A190: 0B07E73E
	v_mul_f32_e32 v132, v62, v244                              // 00000000A194: 0B09E93E
	v_mul_f32_e32 v133, v62, v245                              // 00000000A198: 0B0BEB3E
	v_mul_f32_e32 v134, v62, v246                              // 00000000A19C: 0B0DED3E
	v_mul_f32_e32 v135, v62, v247                              // 00000000A1A0: 0B0FEF3E
	v_mul_f32_e32 v136, v62, v248                              // 00000000A1A4: 0B11F13E
	v_mul_f32_e32 v137, v62, v249                              // 00000000A1A8: 0B13F33E
	v_mul_f32_e32 v138, v62, v250                              // 00000000A1AC: 0B15F53E
	v_mul_f32_e32 v139, v62, v251                              // 00000000A1B0: 0B17F73E
	v_mul_f32_e32 v140, v62, v252                              // 00000000A1B4: 0B19F93E
	v_mul_f32_e32 v141, v62, v253                              // 00000000A1B8: 0B1BFB3E
	v_mul_f32_e32 v142, v62, v254                              // 00000000A1BC: 0B1DFD3E
	v_mul_f32_e32 v143, v62, v255                              // 00000000A1C0: 0B1FFF3E
	v_cvt_pk_fp8_f32 v128, v128, v129                          // 00000000A1C4: D2A20080 00030380
	v_cvt_pk_fp8_f32 v128, v130, v131 op_sel:[0,0,1]           // 00000000A1CC: D2A24080 00030782
	v_cvt_pk_fp8_f32 v129, v132, v133                          // 00000000A1D4: D2A20081 00030B84
	v_cvt_pk_fp8_f32 v129, v134, v135 op_sel:[0,0,1]           // 00000000A1DC: D2A24081 00030F86
	v_cvt_pk_fp8_f32 v130, v136, v137                          // 00000000A1E4: D2A20082 00031388
	v_cvt_pk_fp8_f32 v130, v138, v139 op_sel:[0,0,1]           // 00000000A1EC: D2A24082 0003178A
	v_cvt_pk_fp8_f32 v131, v140, v141                          // 00000000A1F4: D2A20083 00031B8C
	v_cvt_pk_fp8_f32 v131, v142, v143 op_sel:[0,0,1]           // 00000000A1FC: D2A24083 00031F8E
	ds_write_b32 v13, v128 offset:25088                        // 00000000A204: D81A6200 0000800D
	ds_write_b32 v13, v129 offset:26112                        // 00000000A20C: D81A6600 0000810D
	ds_write_b32 v13, v130 offset:27136                        // 00000000A214: D81A6A00 0000820D
	ds_write_b32 v13, v131 offset:28160                        // 00000000A21C: D81A6E00 0000830D
	v_add_f32_e32 v224, v224, v192                             // 00000000A224: 03C181E0
	v_add_f32_e32 v225, v225, v193                             // 00000000A228: 03C383E1
	v_add_f32_e32 v226, v226, v194                             // 00000000A22C: 03C585E2
	v_add_f32_e32 v227, v227, v195                             // 00000000A230: 03C787E3
	v_add_f32_e32 v228, v228, v196                             // 00000000A234: 03C989E4
	v_add_f32_e32 v229, v229, v197                             // 00000000A238: 03CB8BE5
	v_add_f32_e32 v230, v230, v198                             // 00000000A23C: 03CD8DE6
	v_add_f32_e32 v231, v231, v199                             // 00000000A240: 03CF8FE7
	v_rcp_f32_e32 v58, v62                                     // 00000000A244: 7E74453E
	s_waitcnt lgkmcnt(0)                                       // 00000000A248: BF8CC07F
	s_barrier                                                  // 00000000A24C: BF8A0000
	ds_read_b64 v[128:129], v12 offset:25088                   // 00000000A250: D8EC6200 8000000C
	ds_read_b64 v[130:131], v12 offset:25216                   // 00000000A258: D8EC6280 8200000C
	ds_read_b64 v[132:133], v12 offset:26112                   // 00000000A260: D8EC6600 8400000C
	ds_read_b64 v[134:135], v12 offset:26240                   // 00000000A268: D8EC6680 8600000C
	ds_read_b64 v[136:137], v12 offset:27136                   // 00000000A270: D8EC6A00 8800000C
	ds_read_b64 v[138:139], v12 offset:27264                   // 00000000A278: D8EC6A80 8A00000C
	ds_read_b64 v[140:141], v12 offset:28160                   // 00000000A280: D8EC6E00 8C00000C
	ds_read_b64 v[142:143], v12 offset:28288                   // 00000000A288: D8EC6E80 8E00000C
	s_waitcnt vmcnt(0)                                         // 00000000A290: BF8C0F70
	s_barrier                                                  // 00000000A294: BF8A0000
	s_waitcnt lgkmcnt(7)                                       // 00000000A298: BF8CC77F
	v_mfma_f32_16x16x32_fp8_fp8 v[192:195], a[96:97], v[128:129], 0// 00000000A29C: D3F300C0 0A030160
	s_waitcnt lgkmcnt(6)                                       // 00000000A2A4: BF8CC67F
	v_mfma_f32_16x16x32_fp8_fp8 v[192:195], a[98:99], v[130:131], v[192:195]// 00000000A2A8: D3F300C0 0F030562
	s_waitcnt lgkmcnt(5)                                       // 00000000A2B0: BF8CC57F
	v_mfma_f32_16x16x32_fp8_fp8 v[192:195], a[100:101], v[132:133], v[192:195]// 00000000A2B4: D3F300C0 0F030964
	s_waitcnt lgkmcnt(4)                                       // 00000000A2BC: BF8CC47F
	v_mfma_f32_16x16x32_fp8_fp8 v[192:195], a[102:103], v[134:135], v[192:195]// 00000000A2C0: D3F300C0 0F030D66
	s_waitcnt lgkmcnt(3)                                       // 00000000A2C8: BF8CC37F
	v_mfma_f32_16x16x32_fp8_fp8 v[192:195], a[104:105], v[136:137], v[192:195]// 00000000A2CC: D3F300C0 0F031168
	s_waitcnt lgkmcnt(2)                                       // 00000000A2D4: BF8CC27F
	v_mfma_f32_16x16x32_fp8_fp8 v[192:195], a[106:107], v[138:139], v[192:195]// 00000000A2D8: D3F300C0 0F03156A
	s_waitcnt lgkmcnt(1)                                       // 00000000A2E0: BF8CC17F
	v_mfma_f32_16x16x32_fp8_fp8 v[192:195], a[108:109], v[140:141], v[192:195]// 00000000A2E4: D3F300C0 0F03196C
	s_waitcnt lgkmcnt(0)                                       // 00000000A2EC: BF8CC07F
	v_mfma_f32_16x16x32_fp8_fp8 v[192:195], a[110:111], v[142:143], v[192:195]// 00000000A2F0: D3F300C0 0F031D6E
	v_mfma_f32_16x16x32_fp8_fp8 v[196:199], a[112:113], v[128:129], 0// 00000000A2F8: D3F300C4 0A030170
	v_mfma_f32_16x16x32_fp8_fp8 v[196:199], a[114:115], v[130:131], v[196:199]// 00000000A300: D3F300C4 0F130572
	v_mfma_f32_16x16x32_fp8_fp8 v[196:199], a[116:117], v[132:133], v[196:199]// 00000000A308: D3F300C4 0F130974
	v_mfma_f32_16x16x32_fp8_fp8 v[196:199], a[118:119], v[134:135], v[196:199]// 00000000A310: D3F300C4 0F130D76
	v_mfma_f32_16x16x32_fp8_fp8 v[196:199], a[120:121], v[136:137], v[196:199]// 00000000A318: D3F300C4 0F131178
	v_mfma_f32_16x16x32_fp8_fp8 v[196:199], a[122:123], v[138:139], v[196:199]// 00000000A320: D3F300C4 0F13157A
	v_mfma_f32_16x16x32_fp8_fp8 v[196:199], a[124:125], v[140:141], v[196:199]// 00000000A328: D3F300C4 0F13197C
	v_mfma_f32_16x16x32_fp8_fp8 v[196:199], a[126:127], v[142:143], v[196:199]// 00000000A330: D3F300C4 0F131D7E
	s_nop 4                                                    // 00000000A338: BF800004
	s_branch label_2050                                        // 00000000A33C: BF820000

000000000000a340 <label_2050>:
	v_mul_f32_e32 v224, v63, v224                              // 00000000A340: 0BC1C13F
	v_mul_f32_e32 v225, v63, v225                              // 00000000A344: 0BC3C33F
	v_mul_f32_e32 v226, v63, v226                              // 00000000A348: 0BC5C53F
	v_mul_f32_e32 v227, v63, v227                              // 00000000A34C: 0BC7C73F
	v_mul_f32_e32 v228, v63, v228                              // 00000000A350: 0BC9C93F
	v_mul_f32_e32 v229, v63, v229                              // 00000000A354: 0BCBCB3F
	v_mul_f32_e32 v230, v63, v230                              // 00000000A358: 0BCDCD3F
	v_mul_f32_e32 v231, v63, v231                              // 00000000A35C: 0BCFCF3F
	v_mul_f32_e32 v192, v58, v192                              // 00000000A360: 0B81813A
	v_mul_f32_e32 v193, v58, v193                              // 00000000A364: 0B83833A
	v_mul_f32_e32 v194, v58, v194                              // 00000000A368: 0B85853A
	v_mul_f32_e32 v195, v58, v195                              // 00000000A36C: 0B87873A
	v_mul_f32_e32 v196, v58, v196                              // 00000000A370: 0B89893A
	v_mul_f32_e32 v197, v58, v197                              // 00000000A374: 0B8B8B3A
	v_mul_f32_e32 v198, v58, v198                              // 00000000A378: 0B8D8D3A
	v_mul_f32_e32 v199, v58, v199                              // 00000000A37C: 0B8F8F3A
	v_add_f32_e32 v224, v224, v192                             // 00000000A380: 03C181E0
	v_add_f32_e32 v225, v225, v193                             // 00000000A384: 03C383E1
	v_add_f32_e32 v226, v226, v194                             // 00000000A388: 03C585E2
	v_add_f32_e32 v227, v227, v195                             // 00000000A38C: 03C787E3
	v_add_f32_e32 v228, v228, v196                             // 00000000A390: 03C989E4
	v_add_f32_e32 v229, v229, v197                             // 00000000A394: 03CB8BE5
	v_add_f32_e32 v230, v230, v198                             // 00000000A398: 03CD8DE6
	v_add_f32_e32 v231, v231, v199                             // 00000000A39C: 03CF8FE7
	ds_write_b32 v11, v47 offset:16896                         // 00000000A3A0: D81A4200 00002F0B
	s_waitcnt lgkmcnt(0)                                       // 00000000A3A8: BF8CC07F
	s_barrier                                                  // 00000000A3AC: BF8A0000
	ds_read_b32 v80, v10 offset:16896                          // 00000000A3B0: D86C4200 5000000A
	ds_read_b32 v81, v10 offset:16960                          // 00000000A3B8: D86C4240 5100000A
	ds_read_b32 v82, v10 offset:17024                          // 00000000A3C0: D86C4280 5200000A
	ds_read_b32 v83, v10 offset:17088                          // 00000000A3C8: D86C42C0 5300000A
	ds_read_b32 v84, v10 offset:17152                          // 00000000A3D0: D86C4300 5400000A
	ds_read_b32 v85, v10 offset:17216                          // 00000000A3D8: D86C4340 5500000A
	ds_read_b32 v86, v10 offset:17280                          // 00000000A3E0: D86C4380 5600000A
	ds_read_b32 v87, v10 offset:17344                          // 00000000A3E8: D86C43C0 5700000A
	ds_read_b32 v88, v10 offset:17408                          // 00000000A3F0: D86C4400 5800000A
	ds_read_b32 v89, v10 offset:17472                          // 00000000A3F8: D86C4440 5900000A
	ds_read_b32 v90, v10 offset:17536                          // 00000000A400: D86C4480 5A00000A
	ds_read_b32 v91, v10 offset:17600                          // 00000000A408: D86C44C0 5B00000A
	ds_read_b32 v92, v10 offset:17664                          // 00000000A410: D86C4500 5C00000A
	ds_read_b32 v93, v10 offset:17728                          // 00000000A418: D86C4540 5D00000A
	ds_read_b32 v94, v10 offset:17792                          // 00000000A420: D86C4580 5E00000A
	ds_read_b32 v95, v10 offset:17856                          // 00000000A428: D86C45C0 5F00000A
	s_waitcnt lgkmcnt(0)                                       // 00000000A430: BF8CC07F
	v_mov_b32_e32 v47, 0                                       // 00000000A434: 7E5E0280
	v_add_f32_e32 v47, v80, v47                                // 00000000A438: 025E5F50
	v_add_f32_e32 v47, v81, v47                                // 00000000A43C: 025E5F51
	v_add_f32_e32 v47, v82, v47                                // 00000000A440: 025E5F52
	v_add_f32_e32 v47, v83, v47                                // 00000000A444: 025E5F53
	v_add_f32_e32 v47, v84, v47                                // 00000000A448: 025E5F54
	v_add_f32_e32 v47, v85, v47                                // 00000000A44C: 025E5F55
	v_add_f32_e32 v47, v86, v47                                // 00000000A450: 025E5F56
	v_add_f32_e32 v47, v87, v47                                // 00000000A454: 025E5F57
	v_add_f32_e32 v47, v88, v47                                // 00000000A458: 025E5F58
	v_add_f32_e32 v47, v89, v47                                // 00000000A45C: 025E5F59
	v_add_f32_e32 v47, v90, v47                                // 00000000A460: 025E5F5A
	v_add_f32_e32 v47, v91, v47                                // 00000000A464: 025E5F5B
	v_add_f32_e32 v47, v92, v47                                // 00000000A468: 025E5F5C
	v_add_f32_e32 v47, v93, v47                                // 00000000A46C: 025E5F5D
	v_add_f32_e32 v47, v94, v47                                // 00000000A470: 025E5F5E
	v_add_f32_e32 v47, v95, v47                                // 00000000A474: 025E5F5F
	s_nop 1                                                    // 00000000A478: BF800001
	v_rcp_f32_e32 v47, v47                                     // 00000000A47C: 7E5E452F
	s_nop 1                                                    // 00000000A480: BF800001
	v_mul_f32_e32 v224, v47, v224                              // 00000000A484: 0BC1C12F
	v_mul_f32_e32 v225, v47, v225                              // 00000000A488: 0BC3C32F
	v_mul_f32_e32 v226, v47, v226                              // 00000000A48C: 0BC5C52F
	v_mul_f32_e32 v227, v47, v227                              // 00000000A490: 0BC7C72F
	v_mul_f32_e32 v228, v47, v228                              // 00000000A494: 0BC9C92F
	v_mul_f32_e32 v229, v47, v229                              // 00000000A498: 0BCBCB2F
	v_mul_f32_e32 v230, v47, v230                              // 00000000A49C: 0BCDCD2F
	v_mul_f32_e32 v231, v47, v231                              // 00000000A4A0: 0BCFCF2F
	v_cvt_pkrtz_f16_f32 v41, v224, v225                        // 00000000A4A4: D2960029 0003C3E0
	v_mov_b32_e32 v224, v41                                    // 00000000A4AC: 7FC00329
	v_cvt_pkrtz_f16_f32 v41, v226, v227                        // 00000000A4B0: D2960029 0003C7E2
	v_mov_b32_e32 v225, v41                                    // 00000000A4B8: 7FC20329
	v_cvt_pkrtz_f16_f32 v41, v228, v229                        // 00000000A4BC: D2960029 0003CBE4
	v_mov_b32_e32 v226, v41                                    // 00000000A4C4: 7FC40329
	v_cvt_pkrtz_f16_f32 v41, v230, v231                        // 00000000A4C8: D2960029 0003CFE6
	v_mov_b32_e32 v227, v41                                    // 00000000A4D0: 7FC60329
	s_nop 1                                                    // 00000000A4D4: BF800001
	v_lshrrev_b32_e32 v41, 4, v0                               // 00000000A4D8: 20520084
	v_mul_i32_i24_e32 v45, 34, v41                             // 00000000A4DC: 0C5A52A2
	v_and_b32_e32 v41, 15, v0                                  // 00000000A4E0: 2652008F
	v_mul_i32_i24_e32 v42, 2, v41                              // 00000000A4E4: 0C545282
	v_add_u32_e32 v45, v42, v45                                // 00000000A4E8: 685A5B2A
	s_mul_i32 s60, s7, 0x88                                    // 00000000A4EC: 923CFF07 00000088
	v_add_u32_e32 v45, s60, v45                                // 00000000A4F4: 685A5A3C
	v_lshlrev_b32_e32 v45, 2, v45                              // 00000000A4F8: 245A5A82
	ds_write_b64 v45, v[224:225] offset:41472                  // 00000000A4FC: D89AA200 0000E02D
	ds_write_b64 v45, v[226:227] offset:43648                  // 00000000A504: D89AAA80 0000E22D
	v_lshrrev_b32_e32 v41, 1, v0                               // 00000000A50C: 20520081
	v_mul_i32_i24_e32 v45, 34, v41                             // 00000000A510: 0C5A52A2
	v_and_b32_e32 v42, 1, v0                                   // 00000000A514: 26540081
	v_add_u32_e32 v45, v42, v45                                // 00000000A518: 685A5B2A
	s_mul_i32 s60, s7, 2                                       // 00000000A51C: 923C8207
	v_add_u32_e32 v45, s60, v45                                // 00000000A520: 685A5A3C
	v_lshlrev_b32_e32 v45, 2, v45                              // 00000000A524: 245A5A82
	s_waitcnt lgkmcnt(0)                                       // 00000000A528: BF8CC07F
	s_barrier                                                  // 00000000A52C: BF8A0000
	ds_read_b32 v224, v45 offset:41472                         // 00000000A530: D86CA200 E000002D
	ds_read_b32 v225, v45 offset:41504                         // 00000000A538: D86CA220 E100002D
	ds_read_b32 v226, v45 offset:41536                         // 00000000A540: D86CA240 E200002D
	ds_read_b32 v227, v45 offset:41568                         // 00000000A548: D86CA260 E300002D
	s_mul_i32 s60, s7, 0x100                                   // 00000000A550: 923CFF07 00000100
	v_lshlrev_b32_e32 v41, 2, v0                               // 00000000A558: 24520082
	v_add_u32_e64 v41, v41, s60                                // 00000000A55C: D1340029 00007929
	s_waitcnt lgkmcnt(0)                                       // 00000000A564: BF8CC07F
	buffer_store_dword v224, v41, s[8:11], 0 offen             // 00000000A568: E0701000 8002E029
	buffer_store_dword v225, v41, s[8:11], 0 offen offset:1024 // 00000000A570: E0701400 8002E129
	s_add_u32 s8, s75, s8                                      // 00000000A578: 8008084B
	s_addc_u32 s9, 0, s9                                       // 00000000A57C: 82090980
	buffer_store_dword v226, v41, s[8:11], 0 offen             // 00000000A580: E0701000 8002E229
	buffer_store_dword v227, v41, s[8:11], 0 offen offset:1024 // 00000000A588: E0701400 8002E329
	s_add_u32 s8, s75, s8                                      // 00000000A590: 8008084B
	s_addc_u32 s9, 0, s9                                       // 00000000A594: 82090980
	s_branch label_45A8                                        // 00000000A598: BF8224C1

000000000000a59c <label_20E7>:
	s_mov_b32 s88, 0xa0                                        // 00000000A59C: BED800FF 000000A0

000000000000a5a4 <label_20E9>:
	s_mul_i32 s60, s3, s65                                     // 00000000A5A4: 923C4103
	s_mul_i32 s60, s60, 4                                      // 00000000A5A8: 923C843C
	s_add_u32 s24, s60, s24                                    // 00000000A5AC: 8018183C
	s_addc_u32 s25, 0, s25                                     // 00000000A5B0: 82191980
	s_sub_u32 s89, s72, s86                                    // 00000000A5B4: 80D95648
	s_mov_b32 s90, 0xff                                        // 00000000A5B8: BEDA00FF 000000FF
	s_mov_b32 s91, 0x100                                       // 00000000A5C0: BEDB00FF 00000100
	s_mov_b32 s56, 64                                          // 00000000A5C8: BEB800C0
	s_add_u32 s73, s72, 15                                     // 00000000A5CC: 80498F48
	s_lshr_b32 s73, s73, 4                                     // 00000000A5D0: 8F498449
	s_mul_i32 s60, s73, 4                                      // 00000000A5D4: 923C8449
	s_mov_b32 s26, s60                                         // 00000000A5D8: BE9A003C
	v_and_b32_e32 v42, 3, v0                                   // 00000000A5DC: 26540083
	v_cmp_eq_u32_e64 s[60:61], 0, v42                          // 00000000A5E0: D0CA003C 00025480
	v_and_b32_e32 v41, 12, v0                                  // 00000000A5E8: 2652008C
	v_add_u32_e32 v1, s7, v41                                  // 00000000A5EC: 68025207
	v_cndmask_b32_e64 v1, 0, v1, s[60:61]                      // 00000000A5F0: D1000001 00F20280
	v_and_b32_e32 v42, 3, v0                                   // 00000000A5F8: 26540083
	v_cmp_eq_u32_e64 s[60:61], 1, v42                          // 00000000A5FC: D0CA003C 00025481
	v_lshrrev_b32_e32 v41, 4, v0                               // 00000000A604: 20520084
	v_and_b32_e32 v42, 12, v0                                  // 00000000A608: 2654008C
	v_add_u32_e32 v41, v42, v41                                // 00000000A60C: 6852532A
	v_cndmask_b32_e64 v41, 0, v41, s[60:61]                    // 00000000A610: D1000029 00F25280
	v_add_u32_e32 v1, v1, v41                                  // 00000000A618: 68025301
	v_lshlrev_b32_e32 v1, 2, v1                                // 00000000A61C: 24020282
	buffer_load_dword v19, v1, s[24:27], 0 offen               // 00000000A620: E0501000 80061301
	v_add_u32_e32 v1, s56, v1                                  // 00000000A628: 68020238
	buffer_load_dword v20, v1, s[24:27], 0 offen               // 00000000A62C: E0501000 80061401
	s_cmp_le_u32 s73, 32                                       // 00000000A634: BF0BA049
	s_cselect_b32 s56, 0, s56                                  // 00000000A638: 85383880
	s_mul_i32 s60, s2, s67                                     // 00000000A63C: 923C4302
	s_mul_i32 s61, s84, s74                                    // 00000000A640: 923D4A54
	s_add_u32 s60, s60, s61                                    // 00000000A644: 803C3D3C
	s_add_u32 s12, s60, s12                                    // 00000000A648: 800C0C3C
	s_addc_u32 s13, 0, s13                                     // 00000000A64C: 820D0D80
	s_mul_i32 s60, s7, 0x108                                   // 00000000A650: 923CFF07 00000108
	s_add_u32 m0, 0, s60                                       // 00000000A658: 807C3C80
	s_mul_i32 s60, s7, 0x100                                   // 00000000A65C: 923CFF07 00000100
	v_lshlrev_b32_e32 v41, 2, v0                               // 00000000A664: 24520082
	v_add_u32_e64 v41, v41, s60                                // 00000000A668: D1340029 00007929
	v_add_u32_e32 v42, 0x400, v41                              // 00000000A670: 685452FF 00000400
	buffer_load_dword v41, s[12:15], 0 offen lds               // 00000000A678: E0511000 80030029
	s_mul_i32 s60, 4, 0x108                                    // 00000000A680: 923CFF84 00000108
	s_add_u32 m0, m0, s60                                      // 00000000A688: 807C3C7C
	buffer_load_dword v42, s[12:15], 0 offen lds               // 00000000A68C: E0511000 8003002A
	s_mul_i32 s60, 4, 0x108                                    // 00000000A694: 923CFF84 00000108
	s_add_u32 m0, m0, s60                                      // 00000000A69C: 807C3C7C
	s_add_u32 s12, s74, s12                                    // 00000000A6A0: 800C0C4A
	s_addc_u32 s13, 0, s13                                     // 00000000A6A4: 820D0D80
	buffer_load_dword v41, s[12:15], 0 offen lds               // 00000000A6A8: E0511000 80030029
	s_mul_i32 s60, 4, 0x108                                    // 00000000A6B0: 923CFF84 00000108
	s_add_u32 m0, m0, s60                                      // 00000000A6B8: 807C3C7C
	buffer_load_dword v42, s[12:15], 0 offen lds               // 00000000A6BC: E0511000 8003002A
	s_mul_i32 s60, 4, 0x108                                    // 00000000A6C4: 923CFF84 00000108
	s_add_u32 m0, m0, s60                                      // 00000000A6CC: 807C3C7C
	s_add_u32 s12, s74, s12                                    // 00000000A6D0: 800C0C4A
	s_addc_u32 s13, 0, s13                                     // 00000000A6D4: 820D0D80
	buffer_load_dword v41, s[12:15], 0 offen lds               // 00000000A6D8: E0511000 80030029
	s_mul_i32 s60, 4, 0x108                                    // 00000000A6E0: 923CFF84 00000108
	s_add_u32 m0, m0, s60                                      // 00000000A6E8: 807C3C7C
	buffer_load_dword v42, s[12:15], 0 offen lds               // 00000000A6EC: E0511000 8003002A
	s_mul_i32 s60, 4, 0x108                                    // 00000000A6F4: 923CFF84 00000108
	s_add_u32 m0, m0, s60                                      // 00000000A6FC: 807C3C7C
	s_add_u32 s12, s74, s12                                    // 00000000A700: 800C0C4A
	s_addc_u32 s13, 0, s13                                     // 00000000A704: 820D0D80
	buffer_load_dword v41, s[12:15], 0 offen lds               // 00000000A708: E0511000 80030029
	s_mul_i32 s60, 4, 0x108                                    // 00000000A710: 923CFF84 00000108
	s_add_u32 m0, m0, s60                                      // 00000000A718: 807C3C7C
	buffer_load_dword v42, s[12:15], 0 offen lds               // 00000000A71C: E0511000 8003002A
	s_mul_i32 s60, 4, 0x108                                    // 00000000A724: 923CFF84 00000108
	s_add_u32 m0, m0, s60                                      // 00000000A72C: 807C3C7C
	s_add_u32 s12, s74, s12                                    // 00000000A730: 800C0C4A
	s_addc_u32 s13, 0, s13                                     // 00000000A734: 820D0D80
	v_lshrrev_b32_e32 v41, 4, v0                               // 00000000A738: 20520084
	v_lshlrev_b32_e32 v41, 2, v41                              // 00000000A73C: 24525282
	v_and_b32_e32 v42, 3, v0                                   // 00000000A740: 26540083
	v_add_u32_e32 v41, v42, v41                                // 00000000A744: 6852532A
	v_lshlrev_b32_e32 v74, 2, v41                              // 00000000A748: 24945282
	v_mov_b32_e32 v75, v74                                     // 00000000A74C: 7E96034A
	s_mul_i32 s60, s2, 64                                      // 00000000A750: 923CC002
	s_add_u32 s32, s60, s32                                    // 00000000A754: 8020203C
	s_addc_u32 s33, 0, s33                                     // 00000000A758: 82212180
	s_add_u32 s36, s60, s36                                    // 00000000A75C: 8024243C
	s_addc_u32 s37, 0, s37                                     // 00000000A760: 82252580
	s_mul_i32 s60, s2, s76                                     // 00000000A764: 923C4C02
	s_mul_i32 s61, s84, s75                                    // 00000000A768: 923D4B54
	s_add_u32 s60, s60, s61                                    // 00000000A76C: 803C3D3C
	s_add_u32 s8, s60, s8                                      // 00000000A770: 8008083C
	s_addc_u32 s9, 0, s9                                       // 00000000A774: 82090980
	s_mov_b32 s70, 0                                           // 00000000A778: BEC60080
	s_and_b32 s71, s72, 0xffffff00                             // 00000000A77C: 8647FF48 FFFFFF00
	s_mov_b32 s42, 0xff00ff00                                  // 00000000A784: BEAA00FF FF00FF00
	s_mov_b32 s43, 0xff00ff00                                  // 00000000A78C: BEAB00FF FF00FF00
	s_mov_b32 s44, 0xf0f0f0f0                                  // 00000000A794: BEAC00FF F0F0F0F0
	s_mov_b32 s45, 0xf0f0f0f0                                  // 00000000A79C: BEAD00FF F0F0F0F0
	s_mov_b32 s78, 0xff00ff                                    // 00000000A7A4: BECE00FF 00FF00FF
	s_mov_b32 s79, 0xff00ff                                    // 00000000A7AC: BECF00FF 00FF00FF
	v_mul_i32_i24_e64 v78, 64, s66                             // 00000000A7B4: D106004E 000084C0
	v_mov_b32_e32 v68, s68                                     // 00000000A7BC: 7E880244
	s_mov_b32 s52, 0x7060302                                   // 00000000A7C0: BEB400FF 07060302
	s_mov_b32 s53, 0x400                                       // 00000000A7C8: BEB500FF 00000400
	s_mov_b32 s54, 0x40100                                     // 00000000A7D0: BEB600FF 00040100
	s_mov_b32 s55, 0x4020100                                   // 00000000A7D8: BEB700FF 04020100
	s_mov_b32 s6, 0x3fb8aa3b                                   // 00000000A7E0: BE8600FF 3FB8AA3B
	v_mov_b32_e32 v14, 0xff800000                              // 00000000A7E8: 7E1C02FF FF800000
	v_mov_b32_e32 v15, 0xff800000                              // 00000000A7F0: 7E1E02FF FF800000
	v_mov_b32_e32 v63, 0                                       // 00000000A7F8: 7E7E0280
	v_mov_b32_e32 v64, 0                                       // 00000000A7FC: 7E800280
	v_mov_b32_e32 v47, 0                                       // 00000000A800: 7E5E0280
	v_mov_b32_e32 v48, 0                                       // 00000000A804: 7E600280
	v_mov_b32_e32 v58, 0                                       // 00000000A808: 7E740280
	v_mov_b32_e32 v59, 0                                       // 00000000A80C: 7E760280
	v_mov_b32_e32 v22, 0xffff0000                              // 00000000A810: 7E2C02FF FFFF0000
	v_mov_b32_e32 v23, 0x7fff0000                              // 00000000A818: 7E2E02FF 7FFF0000
	v_mov_b32_e32 v24, 0x7fff                                  // 00000000A820: 7E3002FF 00007FFF
	v_add_u32_e32 v1, s56, v1                                  // 00000000A828: 68020238
	v_and_b32_e32 v10, 15, v0                                  // 00000000A82C: 2614008F
	v_lshlrev_b32_e32 v10, 2, v10                              // 00000000A830: 24141482
	v_lshlrev_b32_e32 v11, 2, v0                               // 00000000A834: 24160082
	s_mul_i32 s60, 0x100, s7                                   // 00000000A838: 923C07FF 00000100
	v_add_u32_e32 v11, s60, v11                                // 00000000A840: 6816163C
	v_lshrrev_b32_e32 v41, 4, v0                               // 00000000A844: 20520084
	v_lshlrev_b32_e32 v42, 6, v41                              // 00000000A848: 24545286
	v_and_b32_e32 v41, 15, v0                                  // 00000000A84C: 2652008F
	v_lshlrev_b32_e32 v41, 1, v41                              // 00000000A850: 24525281
	v_add_u32_e32 v42, v41, v42                                // 00000000A854: 68545529
	v_lshlrev_b32_e32 v12, 2, v42                              // 00000000A858: 24185482
	v_lshrrev_b32_e32 v41, 5, v0                               // 00000000A85C: 20520085
	v_lshlrev_b32_e32 v42, 5, v41                              // 00000000A860: 24545285
	v_and_b32_e32 v41, 31, v0                                  // 00000000A864: 2652009F
	v_lshrrev_b32_e32 v43, 4, v41                              // 00000000A868: 20565284
	v_add_u32_e32 v42, v43, v42                                // 00000000A86C: 6854552B
	v_and_b32_e32 v41, 15, v0                                  // 00000000A870: 2652008F
	v_lshlrev_b32_e32 v41, 1, v41                              // 00000000A874: 24525281
	v_add_u32_e32 v42, v41, v42                                // 00000000A878: 68545529
	v_lshlrev_b32_e32 v41, 2, v42                              // 00000000A87C: 24525482
	s_mul_i32 s60, 0x100, s7                                   // 00000000A880: 923C07FF 00000100
	v_add_u32_e64 v13, v41, s60                                // 00000000A888: D134000D 00007929
	v_lshlrev_b32_e32 v6, 4, v0                                // 00000000A890: 240C0084
	s_mul_i32 s60, s2, s69                                     // 00000000A894: 923C4502
	s_add_u32 s16, s60, s16                                    // 00000000A898: 8010103C
	s_addc_u32 s17, 0, s17                                     // 00000000A89C: 82111180
	v_and_b32_e32 v41, 15, v0                                  // 00000000A8A0: 2652008F
	v_lshlrev_b32_e32 v7, 4, v41                               // 00000000A8A4: 240E5284
	s_mul_i32 s61, s2, s69                                     // 00000000A8A8: 923D4502
	s_mul_i32 s60, s7, 0x100                                   // 00000000A8AC: 923CFF07 00000100
	s_add_u32 s60, s60, s61                                    // 00000000A8B4: 803C3D3C
	s_add_u32 s20, s60, s20                                    // 00000000A8B8: 8014143C
	s_addc_u32 s21, 0, s21                                     // 00000000A8BC: 82151580
	s_waitcnt vmcnt(4)                                         // 00000000A8C0: BF8C0F74
	v_mul_u32_u24_dpp v41, v19, v68 row_newbcast:0 row_mask:0xf bank_mask:0xf// 00000000A8C4: 105288FA FF015013
	v_mul_u32_u24_dpp v42, v19, v68 row_newbcast:4 row_mask:0xf bank_mask:0xf// 00000000A8CC: 105488FA FF015413
	v_mul_u32_u24_dpp v43, v19, v68 row_newbcast:8 row_mask:0xf bank_mask:0xf// 00000000A8D4: 105688FA FF015813
	v_mul_u32_u24_dpp v44, v19, v68 row_newbcast:12 row_mask:0xf bank_mask:0xf// 00000000A8DC: 105888FA FF015C13
	v_add_u32_e32 v25, v41, v6                                 // 00000000A8E4: 68320D29
	v_add_u32_e32 v26, v42, v6                                 // 00000000A8E8: 68340D2A
	v_add_u32_e32 v27, v43, v6                                 // 00000000A8EC: 68360D2B
	v_add_u32_e32 v28, v44, v6                                 // 00000000A8F0: 68380D2C
	v_mul_u32_u24_dpp v41, v19, v68 row_newbcast:1 row_mask:0xf bank_mask:0xf// 00000000A8F4: 105288FA FF015113
	v_mul_u32_u24_dpp v42, v19, v68 row_newbcast:5 row_mask:0xf bank_mask:0xf// 00000000A8FC: 105488FA FF015513
	v_mul_u32_u24_dpp v43, v19, v68 row_newbcast:9 row_mask:0xf bank_mask:0xf// 00000000A904: 105688FA FF015913
	v_mul_u32_u24_dpp v44, v19, v68 row_newbcast:13 row_mask:0xf bank_mask:0xf// 00000000A90C: 105888FA FF015D13
	v_add_u32_e32 v33, v41, v7                                 // 00000000A914: 68420F29
	v_add_u32_e32 v34, v42, v7                                 // 00000000A918: 68440F2A
	v_add_u32_e32 v35, v43, v7                                 // 00000000A91C: 68460F2B
	v_add_u32_e32 v36, v44, v7                                 // 00000000A920: 68480F2C
	v_mul_u32_u24_dpp v41, v19, v78 quad_perm:[0,0,0,0] row_mask:0xf bank_mask:0xf// 00000000A924: 10529CFA FF000013
	v_add_u32_e32 v2, v41, v74                                 // 00000000A92C: 68049529
	v_mul_u32_u24_dpp v41, v19, v78 quad_perm:[0,0,0,0] row_mask:0xf bank_mask:0xf// 00000000A930: 10529CFA FF000013
	v_add_u32_e32 v70, v41, v75                                // 00000000A938: 688C9729
	buffer_load_dword v52, v2, s[32:35], 0 offen               // 00000000A93C: E0501000 80083402
	buffer_load_dwordx4 a[0:3], v25, s[16:19], 0 offen         // 00000000A944: E05C1000 80840019
	buffer_load_dwordx4 a[4:7], v25, s[16:19], 0 offen offset:1024// 00000000A94C: E05C1400 80840419
	buffer_load_dwordx4 a[8:11], v26, s[16:19], 0 offen        // 00000000A954: E05C1000 8084081A
	buffer_load_dwordx4 a[12:15], v26, s[16:19], 0 offen offset:1024// 00000000A95C: E05C1400 80840C1A
	buffer_load_dwordx4 a[16:19], v27, s[16:19], 0 offen       // 00000000A964: E05C1000 8084101B
	buffer_load_dwordx4 a[20:23], v27, s[16:19], 0 offen offset:1024// 00000000A96C: E05C1400 8084141B
	buffer_load_dwordx4 a[24:27], v28, s[16:19], 0 offen       // 00000000A974: E05C1000 8084181C
	buffer_load_dwordx4 a[28:31], v28, s[16:19], 0 offen offset:1024// 00000000A97C: E05C1400 80841C1C
	buffer_load_dword v72, v70, s[36:39], 0 offen              // 00000000A984: E0501000 80094846
	buffer_load_dwordx4 a[64:67], v33, s[20:23], 0 offen       // 00000000A98C: E05C1000 80854021
	buffer_load_dwordx4 a[68:71], v34, s[20:23], 0 offen       // 00000000A994: E05C1000 80854422
	buffer_load_dwordx4 a[72:75], v35, s[20:23], 0 offen       // 00000000A99C: E05C1000 80854823
	buffer_load_dwordx4 a[76:79], v36, s[20:23], 0 offen       // 00000000A9A4: E05C1000 80854C24
	buffer_load_dwordx4 a[80:83], v33, s[20:23], 0 offen offset:1024// 00000000A9AC: E05C1400 80855021
	buffer_load_dwordx4 a[84:87], v34, s[20:23], 0 offen offset:1024// 00000000A9B4: E05C1400 80855422
	buffer_load_dwordx4 a[88:91], v35, s[20:23], 0 offen offset:1024// 00000000A9BC: E05C1400 80855823
	buffer_load_dwordx4 a[92:95], v36, s[20:23], 0 offen offset:1024// 00000000A9C4: E05C1400 80855C24
	v_lshrrev_b32_e32 v41, 4, v0                               // 00000000A9CC: 20520084
	v_lshlrev_b32_e32 v42, 1, v41                              // 00000000A9D0: 24545281
	v_and_b32_e32 v41, 15, v0                                  // 00000000A9D4: 2652008F
	v_mul_i32_i24_e32 v41, 0x42, v41                           // 00000000A9D8: 0C5252FF 00000042
	v_add_u32_e32 v42, v41, v42                                // 00000000A9E0: 68545529
	v_lshlrev_b32_e32 v4, 2, v42                               // 00000000A9E4: 24085482
	s_mul_i32 s60, s7, 32                                      // 00000000A9E8: 923CA007
	v_add_u32_e32 v4, s60, v4                                  // 00000000A9EC: 6808083C
	s_waitcnt vmcnt(16) lgkmcnt(0)                             // 00000000A9F0: BF8C4070
	s_barrier                                                  // 00000000A9F4: BF8A0000
	ds_read_b64 v[96:97], v4                                   // 00000000A9F8: D8EC0000 60000004
	ds_read_b64 v[100:101], v4 offset:128                      // 00000000AA00: D8EC0080 64000004
	s_waitcnt lgkmcnt(0)                                       // 00000000AA08: BF8CC07F
	v_and_b32_e32 v41, 0xffff, v96                             // 00000000AA0C: 2652C0FF 0000FFFF
	v_lshrrev_b32_e32 v42, 16, v96                             // 00000000AA14: 2054C090
	v_and_b32_e32 v43, 0xffff, v97                             // 00000000AA18: 2656C2FF 0000FFFF
	v_lshrrev_b32_e32 v44, 16, v97                             // 00000000AA20: 2058C290
	v_cvt_f32_f16_e32 v96, v41                                 // 00000000AA24: 7EC01729
	v_cvt_f32_f16_e32 v97, v42                                 // 00000000AA28: 7EC2172A
	v_cvt_f32_f16_e32 v98, v43                                 // 00000000AA2C: 7EC4172B
	v_cvt_f32_f16_e32 v99, v44                                 // 00000000AA30: 7EC6172C
	v_and_b32_e32 v41, 0xffff, v100                            // 00000000AA34: 2652C8FF 0000FFFF
	v_lshrrev_b32_e32 v42, 16, v100                            // 00000000AA3C: 2054C890
	v_and_b32_e32 v43, 0xffff, v101                            // 00000000AA40: 2656CAFF 0000FFFF
	v_lshrrev_b32_e32 v44, 16, v101                            // 00000000AA48: 2058CA90
	v_cvt_f32_f16_e32 v100, v41                                // 00000000AA4C: 7EC81729
	v_cvt_f32_f16_e32 v101, v42                                // 00000000AA50: 7ECA172A
	v_cvt_f32_f16_e32 v102, v43                                // 00000000AA54: 7ECC172B
	v_cvt_f32_f16_e32 v103, v44                                // 00000000AA58: 7ECE172C
	v_mov_b32_e32 v62, 0x358637bd                              // 00000000AA5C: 7E7C02FF 358637BD
	v_max3_f32 v62, |v96|, |v97|, v62                          // 00000000AA64: D1D3033E 04FAC360
	v_max3_f32 v62, |v98|, |v99|, v62                          // 00000000AA6C: D1D3033E 04FAC762
	v_max3_f32 v62, |v100|, |v101|, v62                        // 00000000AA74: D1D3033E 04FACB64
	v_max3_f32 v62, |v102|, |v103|, v62                        // 00000000AA7C: D1D3033E 04FACF66
	ds_write_b32 v11, v62 offset:16896                         // 00000000AA84: D81A4200 00003E0B
	s_waitcnt lgkmcnt(0)                                       // 00000000AA8C: BF8CC07F
	s_barrier                                                  // 00000000AA90: BF8A0000
	ds_read_b32 v80, v10 offset:16896                          // 00000000AA94: D86C4200 5000000A
	ds_read_b32 v81, v10 offset:16960                          // 00000000AA9C: D86C4240 5100000A
	ds_read_b32 v82, v10 offset:17024                          // 00000000AAA4: D86C4280 5200000A
	ds_read_b32 v83, v10 offset:17088                          // 00000000AAAC: D86C42C0 5300000A
	ds_read_b32 v84, v10 offset:17152                          // 00000000AAB4: D86C4300 5400000A
	ds_read_b32 v85, v10 offset:17216                          // 00000000AABC: D86C4340 5500000A
	ds_read_b32 v86, v10 offset:17280                          // 00000000AAC4: D86C4380 5600000A
	ds_read_b32 v87, v10 offset:17344                          // 00000000AACC: D86C43C0 5700000A
	ds_read_b32 v88, v10 offset:17408                          // 00000000AAD4: D86C4400 5800000A
	ds_read_b32 v89, v10 offset:17472                          // 00000000AADC: D86C4440 5900000A
	ds_read_b32 v90, v10 offset:17536                          // 00000000AAE4: D86C4480 5A00000A
	ds_read_b32 v91, v10 offset:17600                          // 00000000AAEC: D86C44C0 5B00000A
	ds_read_b32 v92, v10 offset:17664                          // 00000000AAF4: D86C4500 5C00000A
	ds_read_b32 v93, v10 offset:17728                          // 00000000AAFC: D86C4540 5D00000A
	ds_read_b32 v94, v10 offset:17792                          // 00000000AB04: D86C4580 5E00000A
	ds_read_b32 v95, v10 offset:17856                          // 00000000AB0C: D86C45C0 5F00000A
	s_waitcnt lgkmcnt(0)                                       // 00000000AB14: BF8CC07F
	v_max3_f32 v62, |v80|, |v81|, v62                          // 00000000AB18: D1D3033E 04FAA350
	v_max3_f32 v62, |v82|, |v83|, v62                          // 00000000AB20: D1D3033E 04FAA752
	v_max3_f32 v62, |v84|, |v85|, v62                          // 00000000AB28: D1D3033E 04FAAB54
	v_max3_f32 v62, |v86|, |v87|, v62                          // 00000000AB30: D1D3033E 04FAAF56
	v_max3_f32 v62, |v88|, |v89|, v62                          // 00000000AB38: D1D3033E 04FAB358
	v_max3_f32 v62, |v90|, |v91|, v62                          // 00000000AB40: D1D3033E 04FAB75A
	v_max3_f32 v62, |v92|, |v93|, v62                          // 00000000AB48: D1D3033E 04FABB5C
	v_max3_f32 v62, |v94|, |v95|, v62                          // 00000000AB50: D1D3033E 04FABF5E
	v_rcp_f32_e32 v62, v62                                     // 00000000AB58: 7E7C453E
	s_nop 1                                                    // 00000000AB5C: BF800001
	v_mul_f32_e32 v62, 0x43e00000, v62                         // 00000000AB60: 0A7C7CFF 43E00000
	v_mul_f32_e32 v96, v62, v96                                // 00000000AB68: 0AC0C13E
	v_mul_f32_e32 v97, v62, v97                                // 00000000AB6C: 0AC2C33E
	v_mul_f32_e32 v98, v62, v98                                // 00000000AB70: 0AC4C53E
	v_mul_f32_e32 v99, v62, v99                                // 00000000AB74: 0AC6C73E
	v_mul_f32_e32 v100, v62, v100                              // 00000000AB78: 0AC8C93E
	v_mul_f32_e32 v101, v62, v101                              // 00000000AB7C: 0ACACB3E
	v_mul_f32_e32 v102, v62, v102                              // 00000000AB80: 0ACCCD3E
	v_mul_f32_e32 v103, v62, v103                              // 00000000AB84: 0ACECF3E
	v_rcp_f32_e32 v54, v62                                     // 00000000AB88: 7E6C453E
	v_cvt_pk_fp8_f32 v96, v96, v97                             // 00000000AB8C: D2A20060 0002C360
	v_cvt_pk_fp8_f32 v96, v98, v99 op_sel:[0,0,1]              // 00000000AB94: D2A24060 0002C762
	v_cvt_pk_fp8_f32 v97, v100, v101                           // 00000000AB9C: D2A20061 0002CB64
	v_cvt_pk_fp8_f32 v97, v102, v103 op_sel:[0,0,1]            // 00000000ABA4: D2A24061 0002CF66
	ds_write_b32 v13, v96 offset:25088                         // 00000000ABAC: D81A6200 0000600D
	ds_write_b32 v13, v97 offset:26112                         // 00000000ABB4: D81A6600 0000610D
	s_waitcnt lgkmcnt(0)                                       // 00000000ABBC: BF8CC07F
	s_barrier                                                  // 00000000ABC0: BF8A0000
	ds_read_b64 v[96:97], v12 offset:25088                     // 00000000ABC4: D8EC6200 6000000C
	ds_read_b64 v[98:99], v12 offset:25216                     // 00000000ABCC: D8EC6280 6200000C
	ds_read_b64 v[100:101], v12 offset:26112                   // 00000000ABD4: D8EC6600 6400000C
	ds_read_b64 v[102:103], v12 offset:26240                   // 00000000ABDC: D8EC6680 6600000C
	v_mov_b32_e32 v224, 0                                      // 00000000ABE4: 7FC00280
	v_mov_b32_e32 v225, 0                                      // 00000000ABE8: 7FC20280
	v_mov_b32_e32 v226, 0                                      // 00000000ABEC: 7FC40280
	v_mov_b32_e32 v227, 0                                      // 00000000ABF0: 7FC60280
	v_mov_b32_e32 v228, 0                                      // 00000000ABF4: 7FC80280
	v_mov_b32_e32 v229, 0                                      // 00000000ABF8: 7FCA0280
	v_mov_b32_e32 v230, 0                                      // 00000000ABFC: 7FCC0280
	v_mov_b32_e32 v231, 0                                      // 00000000AC00: 7FCE0280
	v_mov_b32_e32 v192, 0                                      // 00000000AC04: 7F800280
	v_mov_b32_e32 v193, 0                                      // 00000000AC08: 7F820280
	v_mov_b32_e32 v194, 0                                      // 00000000AC0C: 7F840280
	v_mov_b32_e32 v195, 0                                      // 00000000AC10: 7F860280
	v_mov_b32_e32 v196, 0                                      // 00000000AC14: 7F880280
	v_mov_b32_e32 v197, 0                                      // 00000000AC18: 7F8A0280
	v_mov_b32_e32 v198, 0                                      // 00000000AC1C: 7F8C0280
	v_mov_b32_e32 v199, 0                                      // 00000000AC20: 7F8E0280
	ds_read_b64 v[104:105], v4 offset:4224                     // 00000000AC24: D8EC1080 68000004
	ds_read_b64 v[108:109], v4 offset:4352                     // 00000000AC2C: D8EC1100 6C000004
	s_waitcnt lgkmcnt(0)                                       // 00000000AC34: BF8CC07F
	v_and_b32_e32 v41, 0xffff, v104                            // 00000000AC38: 2652D0FF 0000FFFF
	v_lshrrev_b32_e32 v42, 16, v104                            // 00000000AC40: 2054D090
	v_and_b32_e32 v43, 0xffff, v105                            // 00000000AC44: 2656D2FF 0000FFFF
	v_lshrrev_b32_e32 v44, 16, v105                            // 00000000AC4C: 2058D290
	v_cvt_f32_f16_e32 v104, v41                                // 00000000AC50: 7ED01729
	v_cvt_f32_f16_e32 v105, v42                                // 00000000AC54: 7ED2172A
	v_cvt_f32_f16_e32 v106, v43                                // 00000000AC58: 7ED4172B
	v_cvt_f32_f16_e32 v107, v44                                // 00000000AC5C: 7ED6172C
	v_and_b32_e32 v41, 0xffff, v108                            // 00000000AC60: 2652D8FF 0000FFFF
	v_lshrrev_b32_e32 v42, 16, v108                            // 00000000AC68: 2054D890
	v_and_b32_e32 v43, 0xffff, v109                            // 00000000AC6C: 2656DAFF 0000FFFF
	v_lshrrev_b32_e32 v44, 16, v109                            // 00000000AC74: 2058DA90
	v_cvt_f32_f16_e32 v108, v41                                // 00000000AC78: 7ED81729
	v_cvt_f32_f16_e32 v109, v42                                // 00000000AC7C: 7EDA172A
	v_cvt_f32_f16_e32 v110, v43                                // 00000000AC80: 7EDC172B
	v_cvt_f32_f16_e32 v111, v44                                // 00000000AC84: 7EDE172C
	v_mov_b32_e32 v62, 0x358637bd                              // 00000000AC88: 7E7C02FF 358637BD
	v_max3_f32 v62, |v104|, |v105|, v62                        // 00000000AC90: D1D3033E 04FAD368
	v_max3_f32 v62, |v106|, |v107|, v62                        // 00000000AC98: D1D3033E 04FAD76A
	v_max3_f32 v62, |v108|, |v109|, v62                        // 00000000ACA0: D1D3033E 04FADB6C
	v_max3_f32 v62, |v110|, |v111|, v62                        // 00000000ACA8: D1D3033E 04FADF6E
	ds_write_b32 v11, v62 offset:16896                         // 00000000ACB0: D81A4200 00003E0B
	s_waitcnt lgkmcnt(0)                                       // 00000000ACB8: BF8CC07F
	s_barrier                                                  // 00000000ACBC: BF8A0000
	ds_read_b32 v80, v10 offset:16896                          // 00000000ACC0: D86C4200 5000000A
	ds_read_b32 v81, v10 offset:16960                          // 00000000ACC8: D86C4240 5100000A
	ds_read_b32 v82, v10 offset:17024                          // 00000000ACD0: D86C4280 5200000A
	ds_read_b32 v83, v10 offset:17088                          // 00000000ACD8: D86C42C0 5300000A
	ds_read_b32 v84, v10 offset:17152                          // 00000000ACE0: D86C4300 5400000A
	ds_read_b32 v85, v10 offset:17216                          // 00000000ACE8: D86C4340 5500000A
	ds_read_b32 v86, v10 offset:17280                          // 00000000ACF0: D86C4380 5600000A
	ds_read_b32 v87, v10 offset:17344                          // 00000000ACF8: D86C43C0 5700000A
	ds_read_b32 v88, v10 offset:17408                          // 00000000AD00: D86C4400 5800000A
	ds_read_b32 v89, v10 offset:17472                          // 00000000AD08: D86C4440 5900000A
	ds_read_b32 v90, v10 offset:17536                          // 00000000AD10: D86C4480 5A00000A
	ds_read_b32 v91, v10 offset:17600                          // 00000000AD18: D86C44C0 5B00000A
	ds_read_b32 v92, v10 offset:17664                          // 00000000AD20: D86C4500 5C00000A
	ds_read_b32 v93, v10 offset:17728                          // 00000000AD28: D86C4540 5D00000A
	ds_read_b32 v94, v10 offset:17792                          // 00000000AD30: D86C4580 5E00000A
	ds_read_b32 v95, v10 offset:17856                          // 00000000AD38: D86C45C0 5F00000A
	s_waitcnt lgkmcnt(0)                                       // 00000000AD40: BF8CC07F
	v_max3_f32 v62, |v80|, |v81|, v62                          // 00000000AD44: D1D3033E 04FAA350
	v_max3_f32 v62, |v82|, |v83|, v62                          // 00000000AD4C: D1D3033E 04FAA752
	v_max3_f32 v62, |v84|, |v85|, v62                          // 00000000AD54: D1D3033E 04FAAB54
	v_max3_f32 v62, |v86|, |v87|, v62                          // 00000000AD5C: D1D3033E 04FAAF56
	v_max3_f32 v62, |v88|, |v89|, v62                          // 00000000AD64: D1D3033E 04FAB358
	v_max3_f32 v62, |v90|, |v91|, v62                          // 00000000AD6C: D1D3033E 04FAB75A
	v_max3_f32 v62, |v92|, |v93|, v62                          // 00000000AD74: D1D3033E 04FABB5C
	v_max3_f32 v62, |v94|, |v95|, v62                          // 00000000AD7C: D1D3033E 04FABF5E
	v_rcp_f32_e32 v62, v62                                     // 00000000AD84: 7E7C453E
	s_nop 1                                                    // 00000000AD88: BF800001
	v_mul_f32_e32 v62, 0x43e00000, v62                         // 00000000AD8C: 0A7C7CFF 43E00000
	v_mul_f32_e32 v104, v62, v104                              // 00000000AD94: 0AD0D13E
	v_mul_f32_e32 v105, v62, v105                              // 00000000AD98: 0AD2D33E
	v_mul_f32_e32 v106, v62, v106                              // 00000000AD9C: 0AD4D53E
	v_mul_f32_e32 v107, v62, v107                              // 00000000ADA0: 0AD6D73E
	v_mul_f32_e32 v108, v62, v108                              // 00000000ADA4: 0AD8D93E
	v_mul_f32_e32 v109, v62, v109                              // 00000000ADA8: 0ADADB3E
	v_mul_f32_e32 v110, v62, v110                              // 00000000ADAC: 0ADCDD3E
	v_mul_f32_e32 v111, v62, v111                              // 00000000ADB0: 0ADEDF3E
	v_rcp_f32_e32 v55, v62                                     // 00000000ADB4: 7E6E453E
	v_cvt_pk_fp8_f32 v104, v104, v105                          // 00000000ADB8: D2A20068 0002D368
	v_cvt_pk_fp8_f32 v104, v106, v107 op_sel:[0,0,1]           // 00000000ADC0: D2A24068 0002D76A
	v_cvt_pk_fp8_f32 v105, v108, v109                          // 00000000ADC8: D2A20069 0002DB6C
	v_cvt_pk_fp8_f32 v105, v110, v111 op_sel:[0,0,1]           // 00000000ADD0: D2A24069 0002DF6E
	ds_write_b32 v13, v104 offset:25088                        // 00000000ADD8: D81A6200 0000680D
	ds_write_b32 v13, v105 offset:26112                        // 00000000ADE0: D81A6600 0000690D
	s_waitcnt lgkmcnt(0)                                       // 00000000ADE8: BF8CC07F
	s_barrier                                                  // 00000000ADEC: BF8A0000
	ds_read_b64 v[104:105], v12 offset:25088                   // 00000000ADF0: D8EC6200 6800000C
	ds_read_b64 v[106:107], v12 offset:25216                   // 00000000ADF8: D8EC6280 6A00000C
	ds_read_b64 v[108:109], v12 offset:26112                   // 00000000AE00: D8EC6600 6C00000C
	ds_read_b64 v[110:111], v12 offset:26240                   // 00000000AE08: D8EC6680 6E00000C
	v_mov_b32_e32 v232, 0                                      // 00000000AE10: 7FD00280
	v_mov_b32_e32 v233, 0                                      // 00000000AE14: 7FD20280
	v_mov_b32_e32 v234, 0                                      // 00000000AE18: 7FD40280
	v_mov_b32_e32 v235, 0                                      // 00000000AE1C: 7FD60280
	v_mov_b32_e32 v236, 0                                      // 00000000AE20: 7FD80280
	v_mov_b32_e32 v237, 0                                      // 00000000AE24: 7FDA0280
	v_mov_b32_e32 v238, 0                                      // 00000000AE28: 7FDC0280
	v_mov_b32_e32 v239, 0                                      // 00000000AE2C: 7FDE0280
	v_mov_b32_e32 v200, 0                                      // 00000000AE30: 7F900280
	v_mov_b32_e32 v201, 0                                      // 00000000AE34: 7F920280
	v_mov_b32_e32 v202, 0                                      // 00000000AE38: 7F940280
	v_mov_b32_e32 v203, 0                                      // 00000000AE3C: 7F960280
	v_mov_b32_e32 v204, 0                                      // 00000000AE40: 7F980280
	v_mov_b32_e32 v205, 0                                      // 00000000AE44: 7F9A0280
	v_mov_b32_e32 v206, 0                                      // 00000000AE48: 7F9C0280
	v_mov_b32_e32 v207, 0                                      // 00000000AE4C: 7F9E0280
	s_waitcnt vmcnt(8) lgkmcnt(0)                              // 00000000AE50: BF8C0078
	s_barrier                                                  // 00000000AE54: BF8A0000
	s_cmp_lt_u32 s73, 16                                       // 00000000AE58: BF0A9049
	s_cbranch_scc1 label_37C3                                  // 00000000AE5C: BF8514AB
	s_cmp_lt_i32 s7, 2                                         // 00000000AE60: BF048207
	s_cbranch_scc0 label_2D70                                  // 00000000AE64: BF840A56

000000000000ae68 <label_231A>:
	s_waitcnt vmcnt(8) lgkmcnt(0)                              // 00000000AE68: BF8C0078
	v_mul_u32_u24_dpp v41, v20, v68 row_newbcast:0 row_mask:0xf bank_mask:0xf// 00000000AE6C: 105288FA FF015014
	v_mul_u32_u24_dpp v42, v20, v68 row_newbcast:4 row_mask:0xf bank_mask:0xf// 00000000AE74: 105488FA FF015414
	v_mul_u32_u24_dpp v43, v20, v68 row_newbcast:8 row_mask:0xf bank_mask:0xf// 00000000AE7C: 105688FA FF015814
	v_mul_u32_u24_dpp v44, v20, v68 row_newbcast:12 row_mask:0xf bank_mask:0xf// 00000000AE84: 105888FA FF015C14
	v_add_u32_e32 v29, v41, v6                                 // 00000000AE8C: 683A0D29
	v_add_u32_e32 v30, v42, v6                                 // 00000000AE90: 683C0D2A
	v_add_u32_e32 v31, v43, v6                                 // 00000000AE94: 683E0D2B
	v_add_u32_e32 v32, v44, v6                                 // 00000000AE98: 68400D2C
	v_mul_u32_u24_dpp v41, v20, v78 quad_perm:[0,0,0,0] row_mask:0xf bank_mask:0xf// 00000000AE9C: 10529CFA FF000014
	v_add_u32_e32 v3, v41, v74                                 // 00000000AEA4: 68069529
	v_mul_u32_u24_dpp v41, v20, v78 quad_perm:[0,0,0,0] row_mask:0xf bank_mask:0xf// 00000000AEA8: 10529CFA FF000014
	v_add_u32_e32 v71, v41, v75                                // 00000000AEB0: 688E9729
	v_mfma_f32_16x16x32_fp8_fp8 v[128:131], a[0:1], v[96:97], 0// 00000000AEB4: D3F30080 0A02C100
	v_mfma_f32_16x16x32_fp8_fp8 v[128:131], a[2:3], v[98:99], v[128:131]// 00000000AEBC: D3F30080 0E02C502
	buffer_load_dwordx4 a[32:35], v29, s[16:19], 0 offen       // 00000000AEC4: E05C1000 8084201D
	v_mfma_f32_16x16x32_fp8_fp8 v[128:131], a[4:5], v[100:101], v[128:131]// 00000000AECC: D3F30080 0E02C904
	v_mfma_f32_16x16x32_fp8_fp8 v[128:131], a[6:7], v[102:103], v[128:131]// 00000000AED4: D3F30080 0E02CD06
	buffer_load_dword v19, v1, s[24:27], 0 offen               // 00000000AEDC: E0501000 80061301
	v_mfma_f32_16x16x32_fp8_fp8 v[132:135], a[8:9], v[96:97], 0// 00000000AEE4: D3F30084 0A02C108
	v_mfma_f32_16x16x32_fp8_fp8 v[132:135], a[10:11], v[98:99], v[132:135]// 00000000AEEC: D3F30084 0E12C50A
	buffer_load_dwordx4 a[36:39], v29, s[16:19], 0 offen offset:1024// 00000000AEF4: E05C1400 8084241D
	v_mfma_f32_16x16x32_fp8_fp8 v[132:135], a[12:13], v[100:101], v[132:135]// 00000000AEFC: D3F30084 0E12C90C
	v_mfma_f32_16x16x32_fp8_fp8 v[132:135], a[14:15], v[102:103], v[132:135]// 00000000AF04: D3F30084 0E12CD0E
	v_mfma_f32_16x16x32_fp8_fp8 v[136:139], a[16:17], v[96:97], 0// 00000000AF0C: D3F30088 0A02C110
	v_mfma_f32_16x16x32_fp8_fp8 v[136:139], a[18:19], v[98:99], v[136:139]// 00000000AF14: D3F30088 0E22C512
	buffer_load_dwordx4 a[40:43], v30, s[16:19], 0 offen       // 00000000AF1C: E05C1000 8084281E
	v_mfma_f32_16x16x32_fp8_fp8 v[136:139], a[20:21], v[100:101], v[136:139]// 00000000AF24: D3F30088 0E22C914
	v_mfma_f32_16x16x32_fp8_fp8 v[136:139], a[22:23], v[102:103], v[136:139]// 00000000AF2C: D3F30088 0E22CD16
	v_mfma_f32_16x16x32_fp8_fp8 v[140:143], a[24:25], v[96:97], 0// 00000000AF34: D3F3008C 0A02C118
	v_mfma_f32_16x16x32_fp8_fp8 v[140:143], a[26:27], v[98:99], v[140:143]// 00000000AF3C: D3F3008C 0E32C51A
	buffer_load_dwordx4 a[44:47], v30, s[16:19], 0 offen offset:1024// 00000000AF44: E05C1400 80842C1E
	v_mfma_f32_16x16x32_fp8_fp8 v[140:143], a[28:29], v[100:101], v[140:143]// 00000000AF4C: D3F3008C 0E32C91C
	v_mfma_f32_16x16x32_fp8_fp8 v[140:143], a[30:31], v[102:103], v[140:143]// 00000000AF54: D3F3008C 0E32CD1E
	v_mfma_f32_16x16x32_fp8_fp8 v[144:147], a[0:1], v[104:105], 0// 00000000AF5C: D3F30090 0A02D100
	v_mfma_f32_16x16x32_fp8_fp8 v[144:147], a[2:3], v[106:107], v[144:147]// 00000000AF64: D3F30090 0E42D502
	v_mfma_f32_16x16x32_fp8_fp8 v[144:147], a[4:5], v[108:109], v[144:147]// 00000000AF6C: D3F30090 0E42D904
	v_mfma_f32_16x16x32_fp8_fp8 v[144:147], a[6:7], v[110:111], v[144:147]// 00000000AF74: D3F30090 0E42DD06
	v_mfma_f32_16x16x32_fp8_fp8 v[148:151], a[8:9], v[104:105], 0// 00000000AF7C: D3F30094 0A02D108
	v_mfma_f32_16x16x32_fp8_fp8 v[148:151], a[10:11], v[106:107], v[148:151]// 00000000AF84: D3F30094 0E52D50A
	v_mfma_f32_16x16x32_fp8_fp8 v[148:151], a[12:13], v[108:109], v[148:151]// 00000000AF8C: D3F30094 0E52D90C
	v_mfma_f32_16x16x32_fp8_fp8 v[148:151], a[14:15], v[110:111], v[148:151]// 00000000AF94: D3F30094 0E52DD0E
	v_mfma_f32_16x16x32_fp8_fp8 v[152:155], a[16:17], v[104:105], 0// 00000000AF9C: D3F30098 0A02D110
	v_mfma_f32_16x16x32_fp8_fp8 v[152:155], a[18:19], v[106:107], v[152:155]// 00000000AFA4: D3F30098 0E62D512
	v_mfma_f32_16x16x32_fp8_fp8 v[152:155], a[20:21], v[108:109], v[152:155]// 00000000AFAC: D3F30098 0E62D914
	v_mfma_f32_16x16x32_fp8_fp8 v[152:155], a[22:23], v[110:111], v[152:155]// 00000000AFB4: D3F30098 0E62DD16
	v_mfma_f32_16x16x32_fp8_fp8 v[156:159], a[24:25], v[104:105], 0// 00000000AFBC: D3F3009C 0A02D118
	v_mfma_f32_16x16x32_fp8_fp8 v[156:159], a[26:27], v[106:107], v[156:159]// 00000000AFC4: D3F3009C 0E72D51A
	v_mfma_f32_16x16x32_fp8_fp8 v[156:159], a[28:29], v[108:109], v[156:159]// 00000000AFCC: D3F3009C 0E72D91C
	v_mfma_f32_16x16x32_fp8_fp8 v[156:159], a[30:31], v[110:111], v[156:159]// 00000000AFD4: D3F3009C 0E72DD1E
	buffer_load_dword v53, v3, s[32:35], 0 offen               // 00000000AFDC: E0501000 80083503
	v_mov_b32_dpp v41, v52 row_shr:4 row_mask:0xf bank_mask:0xf// 00000000AFE4: 7E5202FA FF011434
	v_mov_b32_dpp v42, v52 row_shl:4 row_mask:0xf bank_mask:0xf// 00000000AFEC: 7E5402FA FF010434
	v_cndmask_b32_e64 v248, v52, v41, s[44:45]                 // 00000000AFF4: D10000F8 00B25334
	v_cndmask_b32_e64 v249, v42, v52, s[44:45]                 // 00000000AFFC: D10000F9 00B2692A
	v_mov_b32_dpp v41, v248 row_shr:8 row_mask:0xf bank_mask:0xf// 00000000B004: 7E5202FA FF0118F8
	v_mov_b32_dpp v42, v248 row_shl:8 row_mask:0xf bank_mask:0xf// 00000000B00C: 7E5402FA FF0108F8
	v_mov_b32_dpp v43, v249 row_shr:8 row_mask:0xf bank_mask:0xf// 00000000B014: 7E5602FA FF0118F9
	v_mov_b32_dpp v44, v249 row_shl:8 row_mask:0xf bank_mask:0xf// 00000000B01C: 7E5802FA FF0108F9
	v_mov_b32_e32 v45, v248                                    // 00000000B024: 7E5A03F8
	v_mov_b32_e32 v46, v249                                    // 00000000B028: 7E5C03F9
	v_cndmask_b32_e64 v248, v45, v41, s[42:43]                 // 00000000B02C: D10000F8 00AA532D
	v_cndmask_b32_e64 v250, v45, v42, s[78:79]                 // 00000000B034: D10000FA 013A552D
	v_cndmask_b32_e64 v249, v46, v43, s[42:43]                 // 00000000B03C: D10000F9 00AA572E
	v_cndmask_b32_e64 v251, v46, v44, s[78:79]                 // 00000000B044: D10000FB 013A592E
	v_mov_b32_dpp v41, v72 row_shr:4 row_mask:0xf bank_mask:0xf// 00000000B04C: 7E5202FA FF011448
	v_mov_b32_dpp v42, v72 row_shl:4 row_mask:0xf bank_mask:0xf// 00000000B054: 7E5402FA FF010448
	v_cndmask_b32_e64 v252, v72, v41, s[44:45]                 // 00000000B05C: D10000FC 00B25348
	v_cndmask_b32_e64 v253, v42, v72, s[44:45]                 // 00000000B064: D10000FD 00B2912A
	v_mov_b32_dpp v41, v252 row_shr:8 row_mask:0xf bank_mask:0xf// 00000000B06C: 7E5202FA FF0118FC
	v_mov_b32_dpp v42, v252 row_shl:8 row_mask:0xf bank_mask:0xf// 00000000B074: 7E5402FA FF0108FC
	v_mov_b32_dpp v43, v253 row_shr:8 row_mask:0xf bank_mask:0xf// 00000000B07C: 7E5602FA FF0118FD
	v_mov_b32_dpp v44, v253 row_shl:8 row_mask:0xf bank_mask:0xf// 00000000B084: 7E5802FA FF0108FD
	v_mov_b32_e32 v45, v252                                    // 00000000B08C: 7E5A03FC
	v_mov_b32_e32 v46, v253                                    // 00000000B090: 7E5C03FD
	v_cndmask_b32_e64 v252, v45, v41, s[42:43]                 // 00000000B094: D10000FC 00AA532D
	v_cndmask_b32_e64 v254, v45, v42, s[78:79]                 // 00000000B09C: D10000FE 013A552D
	v_cndmask_b32_e64 v253, v46, v43, s[42:43]                 // 00000000B0A4: D10000FD 00AA572E
	v_cndmask_b32_e64 v255, v46, v44, s[78:79]                 // 00000000B0AC: D10000FF 013A592E
	buffer_load_dword v73, v71, s[36:39], 0 offen              // 00000000B0B4: E0501000 80094947
	v_mul_f32_e32 v128, v54, v128                              // 00000000B0BC: 0B010136
	v_mul_f32_e32 v129, v54, v129                              // 00000000B0C0: 0B030336
	v_mul_f32_e32 v130, v54, v130                              // 00000000B0C4: 0B050536
	v_mul_f32_e32 v131, v54, v131                              // 00000000B0C8: 0B070736
	v_mul_f32_e32 v132, v54, v132                              // 00000000B0CC: 0B090936
	v_mul_f32_e32 v133, v54, v133                              // 00000000B0D0: 0B0B0B36
	v_mul_f32_e32 v134, v54, v134                              // 00000000B0D4: 0B0D0D36
	v_mul_f32_e32 v135, v54, v135                              // 00000000B0D8: 0B0F0F36
	v_mul_f32_e32 v136, v54, v136                              // 00000000B0DC: 0B111136
	v_mul_f32_e32 v137, v54, v137                              // 00000000B0E0: 0B131336
	v_mul_f32_e32 v138, v54, v138                              // 00000000B0E4: 0B151536
	v_mul_f32_e32 v139, v54, v139                              // 00000000B0E8: 0B171736
	v_mul_f32_e32 v140, v54, v140                              // 00000000B0EC: 0B191936
	v_mul_f32_e32 v141, v54, v141                              // 00000000B0F0: 0B1B1B36
	v_mul_f32_e32 v142, v54, v142                              // 00000000B0F4: 0B1D1D36
	v_mul_f32_e32 v143, v54, v143                              // 00000000B0F8: 0B1F1F36
	buffer_load_dwordx4 a[48:51], v31, s[16:19], 0 offen       // 00000000B0FC: E05C1000 8084301F
	v_mul_f32_dpp v128, v248, v128 quad_perm:[0,0,0,0] row_mask:0xf bank_mask:0xf// 00000000B104: 0B0100FA FF0000F8
	v_mul_f32_dpp v129, v248, v129 quad_perm:[1,1,1,1] row_mask:0xf bank_mask:0xf// 00000000B10C: 0B0302FA FF0055F8
	v_mul_f32_dpp v130, v248, v130 quad_perm:[2,2,2,2] row_mask:0xf bank_mask:0xf// 00000000B114: 0B0504FA FF00AAF8
	v_mul_f32_dpp v131, v248, v131 quad_perm:[3,3,3,3] row_mask:0xf bank_mask:0xf// 00000000B11C: 0B0706FA FF00FFF8
	v_mul_f32_dpp v132, v249, v132 quad_perm:[0,0,0,0] row_mask:0xf bank_mask:0xf// 00000000B124: 0B0908FA FF0000F9
	v_mul_f32_dpp v133, v249, v133 quad_perm:[1,1,1,1] row_mask:0xf bank_mask:0xf// 00000000B12C: 0B0B0AFA FF0055F9
	v_mul_f32_dpp v134, v249, v134 quad_perm:[2,2,2,2] row_mask:0xf bank_mask:0xf// 00000000B134: 0B0D0CFA FF00AAF9
	v_mul_f32_dpp v135, v249, v135 quad_perm:[3,3,3,3] row_mask:0xf bank_mask:0xf// 00000000B13C: 0B0F0EFA FF00FFF9
	v_mul_f32_dpp v136, v250, v136 quad_perm:[0,0,0,0] row_mask:0xf bank_mask:0xf// 00000000B144: 0B1110FA FF0000FA
	v_mul_f32_dpp v137, v250, v137 quad_perm:[1,1,1,1] row_mask:0xf bank_mask:0xf// 00000000B14C: 0B1312FA FF0055FA
	v_mul_f32_dpp v138, v250, v138 quad_perm:[2,2,2,2] row_mask:0xf bank_mask:0xf// 00000000B154: 0B1514FA FF00AAFA
	v_mul_f32_dpp v139, v250, v139 quad_perm:[3,3,3,3] row_mask:0xf bank_mask:0xf// 00000000B15C: 0B1716FA FF00FFFA
	v_mul_f32_dpp v140, v251, v140 quad_perm:[0,0,0,0] row_mask:0xf bank_mask:0xf// 00000000B164: 0B1918FA FF0000FB
	v_mul_f32_dpp v141, v251, v141 quad_perm:[1,1,1,1] row_mask:0xf bank_mask:0xf// 00000000B16C: 0B1B1AFA FF0055FB
	v_mul_f32_dpp v142, v251, v142 quad_perm:[2,2,2,2] row_mask:0xf bank_mask:0xf// 00000000B174: 0B1D1CFA FF00AAFB
	v_mul_f32_dpp v143, v251, v143 quad_perm:[3,3,3,3] row_mask:0xf bank_mask:0xf// 00000000B17C: 0B1F1EFA FF00FFFB
	buffer_load_dwordx4 a[52:55], v31, s[16:19], 0 offen offset:1024// 00000000B184: E05C1400 8084341F
	s_cmp_le_i32 s90, s89                                      // 00000000B18C: BF05595A
	s_cbranch_scc1 label_2458                                  // 00000000B190: BF850073
	v_mov_b32_e32 v69, 0xff800000                              // 00000000B194: 7E8A02FF FF800000
	s_mov_b32 s60, s90                                         // 00000000B19C: BEBC005A
	s_add_u32 s61, s89, 0xff                                   // 00000000B1A0: 803DFF59 000000FF
	v_mov_b32_e32 v41, s61                                     // 00000000B1A8: 7E52023D
	v_lshrrev_b32_e32 v240, 4, v0                              // 00000000B1AC: 21E00084
	v_mul_i32_i24_e32 v240, 4, v240                            // 00000000B1B0: 0DE1E084
	v_add_u32_e32 v240, s60, v240                              // 00000000B1B4: 69E1E03C
	v_and_b32_e32 v42, 15, v0                                  // 00000000B1B8: 2654008F
	v_lshrrev_b32_e32 v42, 3, v42                              // 00000000B1BC: 20545483
	s_mov_b32 s61, 0                                           // 00000000B1C0: BEBD0080
	s_mul_i32 s60, 16, s7                                      // 00000000B1C4: 923C0790
	v_add_u32_e32 v42, s61, v42                                // 00000000B1C8: 6854543D
	v_sub_u32_e32 v240, v240, v42                              // 00000000B1CC: 6BE055F0
	v_add_u32_e32 v240, s60, v240                              // 00000000B1D0: 69E1E03C
	v_add_u32_e32 v241, 1, v240                                // 00000000B1D4: 69E3E081
	v_add_u32_e32 v242, 2, v240                                // 00000000B1D8: 69E5E082
	v_add_u32_e32 v243, 3, v240                                // 00000000B1DC: 69E7E083
	v_cmp_le_u32_e64 s[40:41], v240, v41                       // 00000000B1E0: D0CB0028 000253F0
	v_add_u32_e32 v240, 64, v240                               // 00000000B1E8: 69E1E0C0
	s_nop 0                                                    // 00000000B1EC: BF800000
	v_cndmask_b32_e64 v128, v69, v128, s[40:41]                // 00000000B1F0: D1000080 00A30145
	v_cmp_le_u32_e64 s[40:41], v241, v41                       // 00000000B1F8: D0CB0028 000253F1
	v_add_u32_e32 v241, 64, v241                               // 00000000B200: 69E3E2C0
	s_nop 0                                                    // 00000000B204: BF800000
	v_cndmask_b32_e64 v129, v69, v129, s[40:41]                // 00000000B208: D1000081 00A30345
	v_cmp_le_u32_e64 s[40:41], v242, v41                       // 00000000B210: D0CB0028 000253F2
	v_add_u32_e32 v242, 64, v242                               // 00000000B218: 69E5E4C0
	s_nop 0                                                    // 00000000B21C: BF800000
	v_cndmask_b32_e64 v130, v69, v130, s[40:41]                // 00000000B220: D1000082 00A30545
	v_cmp_le_u32_e64 s[40:41], v243, v41                       // 00000000B228: D0CB0028 000253F3
	v_add_u32_e32 v243, 64, v243                               // 00000000B230: 69E7E6C0
	s_nop 0                                                    // 00000000B234: BF800000
	v_cndmask_b32_e64 v131, v69, v131, s[40:41]                // 00000000B238: D1000083 00A30745
	v_cmp_le_u32_e64 s[40:41], v240, v41                       // 00000000B240: D0CB0028 000253F0
	v_add_u32_e32 v240, 64, v240                               // 00000000B248: 69E1E0C0
	s_nop 0                                                    // 00000000B24C: BF800000
	v_cndmask_b32_e64 v132, v69, v132, s[40:41]                // 00000000B250: D1000084 00A30945
	v_cmp_le_u32_e64 s[40:41], v241, v41                       // 00000000B258: D0CB0028 000253F1
	v_add_u32_e32 v241, 64, v241                               // 00000000B260: 69E3E2C0
	s_nop 0                                                    // 00000000B264: BF800000
	v_cndmask_b32_e64 v133, v69, v133, s[40:41]                // 00000000B268: D1000085 00A30B45
	v_cmp_le_u32_e64 s[40:41], v242, v41                       // 00000000B270: D0CB0028 000253F2
	v_add_u32_e32 v242, 64, v242                               // 00000000B278: 69E5E4C0
	s_nop 0                                                    // 00000000B27C: BF800000
	v_cndmask_b32_e64 v134, v69, v134, s[40:41]                // 00000000B280: D1000086 00A30D45
	v_cmp_le_u32_e64 s[40:41], v243, v41                       // 00000000B288: D0CB0028 000253F3
	v_add_u32_e32 v243, 64, v243                               // 00000000B290: 69E7E6C0
	s_nop 0                                                    // 00000000B294: BF800000
	v_cndmask_b32_e64 v135, v69, v135, s[40:41]                // 00000000B298: D1000087 00A30F45
	v_cmp_le_u32_e64 s[40:41], v240, v41                       // 00000000B2A0: D0CB0028 000253F0
	v_add_u32_e32 v240, 64, v240                               // 00000000B2A8: 69E1E0C0
	s_nop 0                                                    // 00000000B2AC: BF800000
	v_cndmask_b32_e64 v136, v69, v136, s[40:41]                // 00000000B2B0: D1000088 00A31145
	v_cmp_le_u32_e64 s[40:41], v241, v41                       // 00000000B2B8: D0CB0028 000253F1
	v_add_u32_e32 v241, 64, v241                               // 00000000B2C0: 69E3E2C0
	s_nop 0                                                    // 00000000B2C4: BF800000
	v_cndmask_b32_e64 v137, v69, v137, s[40:41]                // 00000000B2C8: D1000089 00A31345
	v_cmp_le_u32_e64 s[40:41], v242, v41                       // 00000000B2D0: D0CB0028 000253F2
	v_add_u32_e32 v242, 64, v242                               // 00000000B2D8: 69E5E4C0
	s_nop 0                                                    // 00000000B2DC: BF800000
	v_cndmask_b32_e64 v138, v69, v138, s[40:41]                // 00000000B2E0: D100008A 00A31545
	v_cmp_le_u32_e64 s[40:41], v243, v41                       // 00000000B2E8: D0CB0028 000253F3
	v_add_u32_e32 v243, 64, v243                               // 00000000B2F0: 69E7E6C0
	s_nop 0                                                    // 00000000B2F4: BF800000
	v_cndmask_b32_e64 v139, v69, v139, s[40:41]                // 00000000B2F8: D100008B 00A31745
	v_cmp_le_u32_e64 s[40:41], v240, v41                       // 00000000B300: D0CB0028 000253F0
	v_add_u32_e32 v240, 64, v240                               // 00000000B308: 69E1E0C0
	s_nop 0                                                    // 00000000B30C: BF800000
	v_cndmask_b32_e64 v140, v69, v140, s[40:41]                // 00000000B310: D100008C 00A31945
	v_cmp_le_u32_e64 s[40:41], v241, v41                       // 00000000B318: D0CB0028 000253F1
	v_add_u32_e32 v241, 64, v241                               // 00000000B320: 69E3E2C0
	s_nop 0                                                    // 00000000B324: BF800000
	v_cndmask_b32_e64 v141, v69, v141, s[40:41]                // 00000000B328: D100008D 00A31B45
	v_cmp_le_u32_e64 s[40:41], v242, v41                       // 00000000B330: D0CB0028 000253F2
	v_add_u32_e32 v242, 64, v242                               // 00000000B338: 69E5E4C0
	s_nop 0                                                    // 00000000B33C: BF800000
	v_cndmask_b32_e64 v142, v69, v142, s[40:41]                // 00000000B340: D100008E 00A31D45
	v_cmp_le_u32_e64 s[40:41], v243, v41                       // 00000000B348: D0CB0028 000253F3
	v_add_u32_e32 v243, 64, v243                               // 00000000B350: 69E7E6C0
	s_nop 0                                                    // 00000000B354: BF800000
	v_cndmask_b32_e64 v143, v69, v143, s[40:41]                // 00000000B358: D100008F 00A31F45

000000000000b360 <label_2458>:
	v_mov_b32_e32 v62, v128                                    // 00000000B360: 7E7C0380
	v_max3_f32 v62, v128, v129, v62                            // 00000000B364: D1D3003E 04FB0380
	v_max3_f32 v62, v130, v131, v62                            // 00000000B36C: D1D3003E 04FB0782
	v_max3_f32 v62, v132, v133, v62                            // 00000000B374: D1D3003E 04FB0B84
	v_max3_f32 v62, v134, v135, v62                            // 00000000B37C: D1D3003E 04FB0F86
	v_max3_f32 v62, v136, v137, v62                            // 00000000B384: D1D3003E 04FB1388
	v_max3_f32 v62, v138, v139, v62                            // 00000000B38C: D1D3003E 04FB178A
	v_max3_f32 v62, v140, v141, v62                            // 00000000B394: D1D3003E 04FB1B8C
	v_max3_f32 v62, v142, v143, v62                            // 00000000B39C: D1D3003E 04FB1F8E
	ds_write_b32 v11, v62 offset:16896                         // 00000000B3A4: D81A4200 00003E0B
	buffer_load_dwordx4 a[56:59], v32, s[16:19], 0 offen       // 00000000B3AC: E05C1000 80843820
	v_mul_u32_u24_dpp v41, v20, v68 row_newbcast:1 row_mask:0xf bank_mask:0xf// 00000000B3B4: 105288FA FF015114
	v_mul_u32_u24_dpp v42, v20, v68 row_newbcast:5 row_mask:0xf bank_mask:0xf// 00000000B3BC: 105488FA FF015514
	v_mul_u32_u24_dpp v43, v20, v68 row_newbcast:9 row_mask:0xf bank_mask:0xf// 00000000B3C4: 105688FA FF015914
	v_mul_u32_u24_dpp v44, v20, v68 row_newbcast:13 row_mask:0xf bank_mask:0xf// 00000000B3CC: 105888FA FF015D14
	v_add_u32_e32 v37, v41, v7                                 // 00000000B3D4: 684A0F29
	v_add_u32_e32 v38, v42, v7                                 // 00000000B3D8: 684C0F2A
	v_add_u32_e32 v39, v43, v7                                 // 00000000B3DC: 684E0F2B
	v_add_u32_e32 v40, v44, v7                                 // 00000000B3E0: 68500F2C
	v_mul_f32_e32 v224, v63, v224                              // 00000000B3E4: 0BC1C13F
	v_mul_f32_e32 v225, v63, v225                              // 00000000B3E8: 0BC3C33F
	v_mul_f32_e32 v226, v63, v226                              // 00000000B3EC: 0BC5C53F
	v_mul_f32_e32 v227, v63, v227                              // 00000000B3F0: 0BC7C73F
	v_mul_f32_e32 v228, v63, v228                              // 00000000B3F4: 0BC9C93F
	v_mul_f32_e32 v229, v63, v229                              // 00000000B3F8: 0BCBCB3F
	v_mul_f32_e32 v230, v63, v230                              // 00000000B3FC: 0BCDCD3F
	v_mul_f32_e32 v231, v63, v231                              // 00000000B400: 0BCFCF3F
	s_waitcnt lgkmcnt(0)                                       // 00000000B404: BF8CC07F
	s_barrier                                                  // 00000000B408: BF8A0000
	ds_read_b32 v80, v10 offset:16896                          // 00000000B40C: D86C4200 5000000A
	ds_read_b32 v81, v10 offset:16960                          // 00000000B414: D86C4240 5100000A
	ds_read_b32 v82, v10 offset:17024                          // 00000000B41C: D86C4280 5200000A
	ds_read_b32 v83, v10 offset:17088                          // 00000000B424: D86C42C0 5300000A
	ds_read_b32 v84, v10 offset:17152                          // 00000000B42C: D86C4300 5400000A
	ds_read_b32 v85, v10 offset:17216                          // 00000000B434: D86C4340 5500000A
	ds_read_b32 v86, v10 offset:17280                          // 00000000B43C: D86C4380 5600000A
	ds_read_b32 v87, v10 offset:17344                          // 00000000B444: D86C43C0 5700000A
	ds_read_b32 v88, v10 offset:17408                          // 00000000B44C: D86C4400 5800000A
	ds_read_b32 v89, v10 offset:17472                          // 00000000B454: D86C4440 5900000A
	ds_read_b32 v90, v10 offset:17536                          // 00000000B45C: D86C4480 5A00000A
	ds_read_b32 v91, v10 offset:17600                          // 00000000B464: D86C44C0 5B00000A
	ds_read_b32 v92, v10 offset:17664                          // 00000000B46C: D86C4500 5C00000A
	ds_read_b32 v93, v10 offset:17728                          // 00000000B474: D86C4540 5D00000A
	ds_read_b32 v94, v10 offset:17792                          // 00000000B47C: D86C4580 5E00000A
	ds_read_b32 v95, v10 offset:17856                          // 00000000B484: D86C45C0 5F00000A
	buffer_load_dwordx4 a[60:63], v32, s[16:19], 0 offen offset:1024// 00000000B48C: E05C1400 80843C20
	v_mul_f32_e32 v192, v58, v192                              // 00000000B494: 0B81813A
	v_mul_f32_e32 v193, v58, v193                              // 00000000B498: 0B83833A
	v_mul_f32_e32 v194, v58, v194                              // 00000000B49C: 0B85853A
	v_mul_f32_e32 v195, v58, v195                              // 00000000B4A0: 0B87873A
	v_mul_f32_e32 v196, v58, v196                              // 00000000B4A4: 0B89893A
	v_mul_f32_e32 v197, v58, v197                              // 00000000B4A8: 0B8B8B3A
	v_mul_f32_e32 v198, v58, v198                              // 00000000B4AC: 0B8D8D3A
	v_mul_f32_e32 v199, v58, v199                              // 00000000B4B0: 0B8F8F3A
	s_waitcnt lgkmcnt(0)                                       // 00000000B4B4: BF8CC07F
	v_max3_f32 v62, v80, v81, v62                              // 00000000B4B8: D1D3003E 04FAA350
	v_max3_f32 v62, v82, v83, v62                              // 00000000B4C0: D1D3003E 04FAA752
	v_max3_f32 v62, v84, v85, v62                              // 00000000B4C8: D1D3003E 04FAAB54
	v_max3_f32 v62, v86, v87, v62                              // 00000000B4D0: D1D3003E 04FAAF56
	v_max3_f32 v62, v88, v89, v62                              // 00000000B4D8: D1D3003E 04FAB358
	v_max3_f32 v62, v90, v91, v62                              // 00000000B4E0: D1D3003E 04FAB75A
	v_max3_f32 v62, v92, v93, v62                              // 00000000B4E8: D1D3003E 04FABB5C
	v_max3_f32 v62, v94, v95, v62                              // 00000000B4F0: D1D3003E 04FABF5E
	buffer_load_dwordx4 a[96:99], v37, s[20:23], 0 offen       // 00000000B4F8: E05C1000 80856025
	v_mov_b32_e32 v41, 0xff800000                              // 00000000B500: 7E5202FF FF800000
	v_cmp_eq_u32_e64 s[40:41], v41, v14                        // 00000000B508: D0CA0028 00021D29
	s_nop 1                                                    // 00000000B510: BF800001
	v_max_f32_e32 v18, v62, v14                                // 00000000B514: 16241D3E
	v_mul_f32_e32 v67, s64, v18                                // 00000000B518: 0A862440
	v_fma_f32 v128, v128, s64, -v67                            // 00000000B51C: D1CB0080 850C8180
	v_fma_f32 v129, v129, s64, -v67                            // 00000000B524: D1CB0081 850C8181
	v_fma_f32 v130, v130, s64, -v67                            // 00000000B52C: D1CB0082 850C8182
	v_fma_f32 v131, v131, s64, -v67                            // 00000000B534: D1CB0083 850C8183
	v_fma_f32 v132, v132, s64, -v67                            // 00000000B53C: D1CB0084 850C8184
	v_fma_f32 v133, v133, s64, -v67                            // 00000000B544: D1CB0085 850C8185
	v_fma_f32 v134, v134, s64, -v67                            // 00000000B54C: D1CB0086 850C8186
	v_fma_f32 v135, v135, s64, -v67                            // 00000000B554: D1CB0087 850C8187
	v_fma_f32 v136, v136, s64, -v67                            // 00000000B55C: D1CB0088 850C8188
	v_fma_f32 v137, v137, s64, -v67                            // 00000000B564: D1CB0089 850C8189
	v_fma_f32 v138, v138, s64, -v67                            // 00000000B56C: D1CB008A 850C818A
	v_fma_f32 v139, v139, s64, -v67                            // 00000000B574: D1CB008B 850C818B
	v_fma_f32 v140, v140, s64, -v67                            // 00000000B57C: D1CB008C 850C818C
	v_fma_f32 v141, v141, s64, -v67                            // 00000000B584: D1CB008D 850C818D
	v_fma_f32 v142, v142, s64, -v67                            // 00000000B58C: D1CB008E 850C818E
	v_fma_f32 v143, v143, s64, -v67                            // 00000000B594: D1CB008F 850C818F
	buffer_load_dwordx4 a[100:103], v38, s[20:23], 0 offen     // 00000000B59C: E05C1000 80856426
	v_exp_f32_e32 v128, v128                                   // 00000000B5A4: 7F004180
	v_exp_f32_e32 v129, v129                                   // 00000000B5A8: 7F024181
	v_exp_f32_e32 v130, v130                                   // 00000000B5AC: 7F044182
	v_exp_f32_e32 v131, v131                                   // 00000000B5B0: 7F064183
	v_exp_f32_e32 v132, v132                                   // 00000000B5B4: 7F084184
	v_exp_f32_e32 v133, v133                                   // 00000000B5B8: 7F0A4185
	v_exp_f32_e32 v134, v134                                   // 00000000B5BC: 7F0C4186
	v_exp_f32_e32 v135, v135                                   // 00000000B5C0: 7F0E4187
	v_exp_f32_e32 v136, v136                                   // 00000000B5C4: 7F104188
	v_exp_f32_e32 v137, v137                                   // 00000000B5C8: 7F124189
	v_exp_f32_e32 v138, v138                                   // 00000000B5CC: 7F14418A
	v_exp_f32_e32 v139, v139                                   // 00000000B5D0: 7F16418B
	v_exp_f32_e32 v140, v140                                   // 00000000B5D4: 7F18418C
	v_exp_f32_e32 v141, v141                                   // 00000000B5D8: 7F1A418D
	v_exp_f32_e32 v142, v142                                   // 00000000B5DC: 7F1C418E
	v_exp_f32_e32 v143, v143                                   // 00000000B5E0: 7F1E418F
	buffer_load_dwordx4 a[104:107], v39, s[20:23], 0 offen     // 00000000B5E4: E05C1000 80856827
	v_mul_f32_dpp v240, v252, v128 quad_perm:[0,0,0,0] row_mask:0xf bank_mask:0xf// 00000000B5EC: 0BE100FA FF0000FC
	v_mul_f32_dpp v241, v252, v129 quad_perm:[1,1,1,1] row_mask:0xf bank_mask:0xf// 00000000B5F4: 0BE302FA FF0055FC
	v_mul_f32_dpp v242, v252, v130 quad_perm:[2,2,2,2] row_mask:0xf bank_mask:0xf// 00000000B5FC: 0BE504FA FF00AAFC
	v_mul_f32_dpp v243, v252, v131 quad_perm:[3,3,3,3] row_mask:0xf bank_mask:0xf// 00000000B604: 0BE706FA FF00FFFC
	v_mul_f32_dpp v244, v253, v132 quad_perm:[0,0,0,0] row_mask:0xf bank_mask:0xf// 00000000B60C: 0BE908FA FF0000FD
	v_mul_f32_dpp v245, v253, v133 quad_perm:[1,1,1,1] row_mask:0xf bank_mask:0xf// 00000000B614: 0BEB0AFA FF0055FD
	v_mul_f32_dpp v246, v253, v134 quad_perm:[2,2,2,2] row_mask:0xf bank_mask:0xf// 00000000B61C: 0BED0CFA FF00AAFD
	v_mul_f32_dpp v247, v253, v135 quad_perm:[3,3,3,3] row_mask:0xf bank_mask:0xf// 00000000B624: 0BEF0EFA FF00FFFD
	v_mul_f32_dpp v248, v254, v136 quad_perm:[0,0,0,0] row_mask:0xf bank_mask:0xf// 00000000B62C: 0BF110FA FF0000FE
	v_mul_f32_dpp v249, v254, v137 quad_perm:[1,1,1,1] row_mask:0xf bank_mask:0xf// 00000000B634: 0BF312FA FF0055FE
	v_mul_f32_dpp v250, v254, v138 quad_perm:[2,2,2,2] row_mask:0xf bank_mask:0xf// 00000000B63C: 0BF514FA FF00AAFE
	v_mul_f32_dpp v251, v254, v139 quad_perm:[3,3,3,3] row_mask:0xf bank_mask:0xf// 00000000B644: 0BF716FA FF00FFFE
	v_mul_f32_dpp v252, v255, v140 quad_perm:[0,0,0,0] row_mask:0xf bank_mask:0xf// 00000000B64C: 0BF918FA FF0000FF
	v_mul_f32_dpp v253, v255, v141 quad_perm:[1,1,1,1] row_mask:0xf bank_mask:0xf// 00000000B654: 0BFB1AFA FF0055FF
	v_mul_f32_dpp v254, v255, v142 quad_perm:[2,2,2,2] row_mask:0xf bank_mask:0xf// 00000000B65C: 0BFD1CFA FF00AAFF
	v_mul_f32_dpp v255, v255, v143 quad_perm:[3,3,3,3] row_mask:0xf bank_mask:0xf// 00000000B664: 0BFF1EFA FF00FFFF
	v_mov_b32_e32 v62, 0x358637bd                              // 00000000B66C: 7E7C02FF 358637BD
	v_max3_f32 v62, |v240|, |v241|, v62                        // 00000000B674: D1D3033E 04FBE3F0
	v_max3_f32 v62, |v242|, |v243|, v62                        // 00000000B67C: D1D3033E 04FBE7F2
	v_max3_f32 v62, |v244|, |v245|, v62                        // 00000000B684: D1D3033E 04FBEBF4
	v_max3_f32 v62, |v246|, |v247|, v62                        // 00000000B68C: D1D3033E 04FBEFF6
	v_max3_f32 v62, |v248|, |v249|, v62                        // 00000000B694: D1D3033E 04FBF3F8
	v_max3_f32 v62, |v250|, |v251|, v62                        // 00000000B69C: D1D3033E 04FBF7FA
	v_max3_f32 v62, |v252|, |v253|, v62                        // 00000000B6A4: D1D3033E 04FBFBFC
	v_max3_f32 v62, |v254|, |v255|, v62                        // 00000000B6AC: D1D3033E 04FBFFFE
	buffer_load_dwordx4 a[108:111], v40, s[20:23], 0 offen     // 00000000B6B4: E05C1000 80856C28
	ds_write_b32 v11, v62 offset:20992                         // 00000000B6BC: D81A5200 00003E0B
	v_sub_f32_e32 v63, v14, v18                                // 00000000B6C4: 047E250E
	v_cndmask_b32_e64 v63, v63, 0, s[40:41]                    // 00000000B6C8: D100003F 00A1013F
	v_mov_b32_e32 v14, v18                                     // 00000000B6D0: 7E1C0312
	v_mul_f32_e32 v63, s64, v63                                // 00000000B6D4: 0A7E7E40
	v_exp_f32_e32 v63, v63                                     // 00000000B6D8: 7E7E413F
	s_waitcnt lgkmcnt(0)                                       // 00000000B6DC: BF8CC07F
	s_barrier                                                  // 00000000B6E0: BF8A0000
	ds_read_b32 v80, v10 offset:20992                          // 00000000B6E4: D86C5200 5000000A
	ds_read_b32 v81, v10 offset:21056                          // 00000000B6EC: D86C5240 5100000A
	ds_read_b32 v82, v10 offset:21120                          // 00000000B6F4: D86C5280 5200000A
	ds_read_b32 v83, v10 offset:21184                          // 00000000B6FC: D86C52C0 5300000A
	ds_read_b32 v84, v10 offset:21248                          // 00000000B704: D86C5300 5400000A
	ds_read_b32 v85, v10 offset:21312                          // 00000000B70C: D86C5340 5500000A
	ds_read_b32 v86, v10 offset:21376                          // 00000000B714: D86C5380 5600000A
	ds_read_b32 v87, v10 offset:21440                          // 00000000B71C: D86C53C0 5700000A
	ds_read_b32 v88, v10 offset:21504                          // 00000000B724: D86C5400 5800000A
	ds_read_b32 v89, v10 offset:21568                          // 00000000B72C: D86C5440 5900000A
	ds_read_b32 v90, v10 offset:21632                          // 00000000B734: D86C5480 5A00000A
	ds_read_b32 v91, v10 offset:21696                          // 00000000B73C: D86C54C0 5B00000A
	ds_read_b32 v92, v10 offset:21760                          // 00000000B744: D86C5500 5C00000A
	ds_read_b32 v93, v10 offset:21824                          // 00000000B74C: D86C5540 5D00000A
	ds_read_b32 v94, v10 offset:21888                          // 00000000B754: D86C5580 5E00000A
	ds_read_b32 v95, v10 offset:21952                          // 00000000B75C: D86C55C0 5F00000A
	v_mul_f32_e32 v47, v63, v47                                // 00000000B764: 0A5E5F3F
	v_mov_b32_e32 v18, v128                                    // 00000000B768: 7E240380
	v_add_f32_e32 v18, v129, v18                               // 00000000B76C: 02242581
	v_add_f32_e32 v18, v130, v18                               // 00000000B770: 02242582
	v_add_f32_e32 v18, v131, v18                               // 00000000B774: 02242583
	v_add_f32_e32 v18, v132, v18                               // 00000000B778: 02242584
	v_add_f32_e32 v18, v133, v18                               // 00000000B77C: 02242585
	v_add_f32_e32 v18, v134, v18                               // 00000000B780: 02242586
	v_add_f32_e32 v18, v135, v18                               // 00000000B784: 02242587
	v_add_f32_e32 v18, v136, v18                               // 00000000B788: 02242588
	v_add_f32_e32 v18, v137, v18                               // 00000000B78C: 02242589
	v_add_f32_e32 v18, v138, v18                               // 00000000B790: 0224258A
	v_add_f32_e32 v18, v139, v18                               // 00000000B794: 0224258B
	v_add_f32_e32 v18, v140, v18                               // 00000000B798: 0224258C
	v_add_f32_e32 v18, v141, v18                               // 00000000B79C: 0224258D
	v_add_f32_e32 v18, v142, v18                               // 00000000B7A0: 0224258E
	v_add_f32_e32 v18, v143, v18                               // 00000000B7A4: 0224258F
	v_add_f32_e32 v47, v18, v47                                // 00000000B7A8: 025E5F12
	s_waitcnt lgkmcnt(0)                                       // 00000000B7AC: BF8CC07F
	v_max3_f32 v62, |v80|, |v81|, v62                          // 00000000B7B0: D1D3033E 04FAA350
	v_max3_f32 v62, |v82|, |v83|, v62                          // 00000000B7B8: D1D3033E 04FAA752
	v_max3_f32 v62, |v84|, |v85|, v62                          // 00000000B7C0: D1D3033E 04FAAB54
	v_max3_f32 v62, |v86|, |v87|, v62                          // 00000000B7C8: D1D3033E 04FAAF56
	v_max3_f32 v62, |v88|, |v89|, v62                          // 00000000B7D0: D1D3033E 04FAB358
	v_max3_f32 v62, |v90|, |v91|, v62                          // 00000000B7D8: D1D3033E 04FAB75A
	v_max3_f32 v62, |v92|, |v93|, v62                          // 00000000B7E0: D1D3033E 04FABB5C
	v_max3_f32 v62, |v94|, |v95|, v62                          // 00000000B7E8: D1D3033E 04FABF5E
	s_nop 2                                                    // 00000000B7F0: BF800002
	v_rcp_f32_e32 v62, v62                                     // 00000000B7F4: 7E7C453E
	s_nop 1                                                    // 00000000B7F8: BF800001
	v_mul_f32_e32 v62, 0x43e00000, v62                         // 00000000B7FC: 0A7C7CFF 43E00000
	v_mul_f32_e32 v128, v62, v240                              // 00000000B804: 0B01E13E
	v_mul_f32_e32 v129, v62, v241                              // 00000000B808: 0B03E33E
	v_mul_f32_e32 v130, v62, v242                              // 00000000B80C: 0B05E53E
	v_mul_f32_e32 v131, v62, v243                              // 00000000B810: 0B07E73E
	v_mul_f32_e32 v132, v62, v244                              // 00000000B814: 0B09E93E
	v_mul_f32_e32 v133, v62, v245                              // 00000000B818: 0B0BEB3E
	v_mul_f32_e32 v134, v62, v246                              // 00000000B81C: 0B0DED3E
	v_mul_f32_e32 v135, v62, v247                              // 00000000B820: 0B0FEF3E
	v_mul_f32_e32 v136, v62, v248                              // 00000000B824: 0B11F13E
	v_mul_f32_e32 v137, v62, v249                              // 00000000B828: 0B13F33E
	v_mul_f32_e32 v138, v62, v250                              // 00000000B82C: 0B15F53E
	v_mul_f32_e32 v139, v62, v251                              // 00000000B830: 0B17F73E
	v_mul_f32_e32 v140, v62, v252                              // 00000000B834: 0B19F93E
	v_mul_f32_e32 v141, v62, v253                              // 00000000B838: 0B1BFB3E
	v_mul_f32_e32 v142, v62, v254                              // 00000000B83C: 0B1DFD3E
	v_mul_f32_e32 v143, v62, v255                              // 00000000B840: 0B1FFF3E
	v_cvt_pk_fp8_f32 v128, v128, v129                          // 00000000B844: D2A20080 00030380
	v_cvt_pk_fp8_f32 v128, v130, v131 op_sel:[0,0,1]           // 00000000B84C: D2A24080 00030782
	v_cvt_pk_fp8_f32 v129, v132, v133                          // 00000000B854: D2A20081 00030B84
	v_cvt_pk_fp8_f32 v129, v134, v135 op_sel:[0,0,1]           // 00000000B85C: D2A24081 00030F86
	v_cvt_pk_fp8_f32 v130, v136, v137                          // 00000000B864: D2A20082 00031388
	v_cvt_pk_fp8_f32 v130, v138, v139 op_sel:[0,0,1]           // 00000000B86C: D2A24082 0003178A
	v_cvt_pk_fp8_f32 v131, v140, v141                          // 00000000B874: D2A20083 00031B8C
	v_cvt_pk_fp8_f32 v131, v142, v143 op_sel:[0,0,1]           // 00000000B87C: D2A24083 00031F8E
	ds_write_b32 v13, v128 offset:25088                        // 00000000B884: D81A6200 0000800D
	ds_write_b32 v13, v129 offset:26112                        // 00000000B88C: D81A6600 0000810D
	ds_write_b32 v13, v130 offset:27136                        // 00000000B894: D81A6A00 0000820D
	ds_write_b32 v13, v131 offset:28160                        // 00000000B89C: D81A6E00 0000830D
	v_add_f32_e32 v224, v224, v192                             // 00000000B8A4: 03C181E0
	v_add_f32_e32 v225, v225, v193                             // 00000000B8A8: 03C383E1
	v_add_f32_e32 v226, v226, v194                             // 00000000B8AC: 03C585E2
	v_add_f32_e32 v227, v227, v195                             // 00000000B8B0: 03C787E3
	v_add_f32_e32 v228, v228, v196                             // 00000000B8B4: 03C989E4
	v_add_f32_e32 v229, v229, v197                             // 00000000B8B8: 03CB8BE5
	v_add_f32_e32 v230, v230, v198                             // 00000000B8BC: 03CD8DE6
	v_add_f32_e32 v231, v231, v199                             // 00000000B8C0: 03CF8FE7
	v_rcp_f32_e32 v58, v62                                     // 00000000B8C4: 7E74453E
	s_waitcnt lgkmcnt(0)                                       // 00000000B8C8: BF8CC07F
	s_barrier                                                  // 00000000B8CC: BF8A0000
	ds_read_b64 v[128:129], v12 offset:25088                   // 00000000B8D0: D8EC6200 8000000C
	ds_read_b64 v[130:131], v12 offset:25216                   // 00000000B8D8: D8EC6280 8200000C
	ds_read_b64 v[132:133], v12 offset:26112                   // 00000000B8E0: D8EC6600 8400000C
	ds_read_b64 v[134:135], v12 offset:26240                   // 00000000B8E8: D8EC6680 8600000C
	ds_read_b64 v[136:137], v12 offset:27136                   // 00000000B8F0: D8EC6A00 8800000C
	ds_read_b64 v[138:139], v12 offset:27264                   // 00000000B8F8: D8EC6A80 8A00000C
	ds_read_b64 v[140:141], v12 offset:28160                   // 00000000B900: D8EC6E00 8C00000C
	ds_read_b64 v[142:143], v12 offset:28288                   // 00000000B908: D8EC6E80 8E00000C
	v_mov_b32_dpp v41, v52 row_shr:4 row_mask:0xf bank_mask:0xf// 00000000B910: 7E5202FA FF011434
	v_mov_b32_dpp v42, v52 row_shl:4 row_mask:0xf bank_mask:0xf// 00000000B918: 7E5402FA FF010434
	v_cndmask_b32_e64 v248, v52, v41, s[44:45]                 // 00000000B920: D10000F8 00B25334
	v_cndmask_b32_e64 v249, v42, v52, s[44:45]                 // 00000000B928: D10000F9 00B2692A
	v_mov_b32_dpp v41, v248 row_shr:8 row_mask:0xf bank_mask:0xf// 00000000B930: 7E5202FA FF0118F8
	v_mov_b32_dpp v42, v248 row_shl:8 row_mask:0xf bank_mask:0xf// 00000000B938: 7E5402FA FF0108F8
	v_mov_b32_dpp v43, v249 row_shr:8 row_mask:0xf bank_mask:0xf// 00000000B940: 7E5602FA FF0118F9
	v_mov_b32_dpp v44, v249 row_shl:8 row_mask:0xf bank_mask:0xf// 00000000B948: 7E5802FA FF0108F9
	v_mov_b32_e32 v45, v248                                    // 00000000B950: 7E5A03F8
	v_mov_b32_e32 v46, v249                                    // 00000000B954: 7E5C03F9
	v_cndmask_b32_e64 v248, v45, v41, s[42:43]                 // 00000000B958: D10000F8 00AA532D
	v_cndmask_b32_e64 v250, v45, v42, s[78:79]                 // 00000000B960: D10000FA 013A552D
	v_cndmask_b32_e64 v249, v46, v43, s[42:43]                 // 00000000B968: D10000F9 00AA572E
	v_cndmask_b32_e64 v251, v46, v44, s[78:79]                 // 00000000B970: D10000FB 013A592E
	v_mov_b32_dpp v41, v72 row_shr:4 row_mask:0xf bank_mask:0xf// 00000000B978: 7E5202FA FF011448
	v_mov_b32_dpp v42, v72 row_shl:4 row_mask:0xf bank_mask:0xf// 00000000B980: 7E5402FA FF010448
	v_cndmask_b32_e64 v252, v72, v41, s[44:45]                 // 00000000B988: D10000FC 00B25348
	v_cndmask_b32_e64 v253, v42, v72, s[44:45]                 // 00000000B990: D10000FD 00B2912A
	v_mov_b32_dpp v41, v252 row_shr:8 row_mask:0xf bank_mask:0xf// 00000000B998: 7E5202FA FF0118FC
	v_mov_b32_dpp v42, v252 row_shl:8 row_mask:0xf bank_mask:0xf// 00000000B9A0: 7E5402FA FF0108FC
	v_mov_b32_dpp v43, v253 row_shr:8 row_mask:0xf bank_mask:0xf// 00000000B9A8: 7E5602FA FF0118FD
	v_mov_b32_dpp v44, v253 row_shl:8 row_mask:0xf bank_mask:0xf// 00000000B9B0: 7E5802FA FF0108FD
	v_mov_b32_e32 v45, v252                                    // 00000000B9B8: 7E5A03FC
	v_mov_b32_e32 v46, v253                                    // 00000000B9BC: 7E5C03FD
	v_cndmask_b32_e64 v252, v45, v41, s[42:43]                 // 00000000B9C0: D10000FC 00AA532D
	v_cndmask_b32_e64 v254, v45, v42, s[78:79]                 // 00000000B9C8: D10000FE 013A552D
	v_cndmask_b32_e64 v253, v46, v43, s[42:43]                 // 00000000B9D0: D10000FD 00AA572E
	v_cndmask_b32_e64 v255, v46, v44, s[78:79]                 // 00000000B9D8: D10000FF 013A592E
	v_mul_f32_e32 v144, v55, v144                              // 00000000B9E0: 0B212137
	v_mul_f32_e32 v145, v55, v145                              // 00000000B9E4: 0B232337
	v_mul_f32_e32 v146, v55, v146                              // 00000000B9E8: 0B252537
	v_mul_f32_e32 v147, v55, v147                              // 00000000B9EC: 0B272737
	v_mul_f32_e32 v148, v55, v148                              // 00000000B9F0: 0B292937
	v_mul_f32_e32 v149, v55, v149                              // 00000000B9F4: 0B2B2B37
	v_mul_f32_e32 v150, v55, v150                              // 00000000B9F8: 0B2D2D37
	v_mul_f32_e32 v151, v55, v151                              // 00000000B9FC: 0B2F2F37
	v_mul_f32_e32 v152, v55, v152                              // 00000000BA00: 0B313137
	v_mul_f32_e32 v153, v55, v153                              // 00000000BA04: 0B333337
	v_mul_f32_e32 v154, v55, v154                              // 00000000BA08: 0B353537
	v_mul_f32_e32 v155, v55, v155                              // 00000000BA0C: 0B373737
	v_mul_f32_e32 v156, v55, v156                              // 00000000BA10: 0B393937
	v_mul_f32_e32 v157, v55, v157                              // 00000000BA14: 0B3B3B37
	v_mul_f32_e32 v158, v55, v158                              // 00000000BA18: 0B3D3D37
	v_mul_f32_e32 v159, v55, v159                              // 00000000BA1C: 0B3F3F37
	v_mul_f32_dpp v144, v248, v144 quad_perm:[0,0,0,0] row_mask:0xf bank_mask:0xf// 00000000BA20: 0B2120FA FF0000F8
	v_mul_f32_dpp v145, v248, v145 quad_perm:[1,1,1,1] row_mask:0xf bank_mask:0xf// 00000000BA28: 0B2322FA FF0055F8
	v_mul_f32_dpp v146, v248, v146 quad_perm:[2,2,2,2] row_mask:0xf bank_mask:0xf// 00000000BA30: 0B2524FA FF00AAF8
	v_mul_f32_dpp v147, v248, v147 quad_perm:[3,3,3,3] row_mask:0xf bank_mask:0xf// 00000000BA38: 0B2726FA FF00FFF8
	v_mul_f32_dpp v148, v249, v148 quad_perm:[0,0,0,0] row_mask:0xf bank_mask:0xf// 00000000BA40: 0B2928FA FF0000F9
	v_mul_f32_dpp v149, v249, v149 quad_perm:[1,1,1,1] row_mask:0xf bank_mask:0xf// 00000000BA48: 0B2B2AFA FF0055F9
	v_mul_f32_dpp v150, v249, v150 quad_perm:[2,2,2,2] row_mask:0xf bank_mask:0xf// 00000000BA50: 0B2D2CFA FF00AAF9
	v_mul_f32_dpp v151, v249, v151 quad_perm:[3,3,3,3] row_mask:0xf bank_mask:0xf// 00000000BA58: 0B2F2EFA FF00FFF9
	v_mul_f32_dpp v152, v250, v152 quad_perm:[0,0,0,0] row_mask:0xf bank_mask:0xf// 00000000BA60: 0B3130FA FF0000FA
	v_mul_f32_dpp v153, v250, v153 quad_perm:[1,1,1,1] row_mask:0xf bank_mask:0xf// 00000000BA68: 0B3332FA FF0055FA
	v_mul_f32_dpp v154, v250, v154 quad_perm:[2,2,2,2] row_mask:0xf bank_mask:0xf// 00000000BA70: 0B3534FA FF00AAFA
	v_mul_f32_dpp v155, v250, v155 quad_perm:[3,3,3,3] row_mask:0xf bank_mask:0xf// 00000000BA78: 0B3736FA FF00FFFA
	v_mul_f32_dpp v156, v251, v156 quad_perm:[0,0,0,0] row_mask:0xf bank_mask:0xf// 00000000BA80: 0B3938FA FF0000FB
	v_mul_f32_dpp v157, v251, v157 quad_perm:[1,1,1,1] row_mask:0xf bank_mask:0xf// 00000000BA88: 0B3B3AFA FF0055FB
	v_mul_f32_dpp v158, v251, v158 quad_perm:[2,2,2,2] row_mask:0xf bank_mask:0xf// 00000000BA90: 0B3D3CFA FF00AAFB
	v_mul_f32_dpp v159, v251, v159 quad_perm:[3,3,3,3] row_mask:0xf bank_mask:0xf// 00000000BA98: 0B3F3EFA FF00FFFB
	s_cmp_le_i32 s90, s89                                      // 00000000BAA0: BF05595A
	s_cbranch_scc1 label_269D                                  // 00000000BAA4: BF850073
	v_mov_b32_e32 v69, 0xff800000                              // 00000000BAA8: 7E8A02FF FF800000
	s_mov_b32 s60, s90                                         // 00000000BAB0: BEBC005A
	s_add_u32 s61, s89, 0xff                                   // 00000000BAB4: 803DFF59 000000FF
	v_mov_b32_e32 v41, s61                                     // 00000000BABC: 7E52023D
	v_lshrrev_b32_e32 v240, 4, v0                              // 00000000BAC0: 21E00084
	v_mul_i32_i24_e32 v240, 4, v240                            // 00000000BAC4: 0DE1E084
	v_add_u32_e32 v240, s60, v240                              // 00000000BAC8: 69E1E03C
	v_and_b32_e32 v42, 15, v0                                  // 00000000BACC: 2654008F
	v_lshrrev_b32_e32 v42, 3, v42                              // 00000000BAD0: 20545483
	s_mov_b32 s61, 2                                           // 00000000BAD4: BEBD0082
	s_mul_i32 s60, 16, s7                                      // 00000000BAD8: 923C0790
	v_add_u32_e32 v42, s61, v42                                // 00000000BADC: 6854543D
	v_sub_u32_e32 v240, v240, v42                              // 00000000BAE0: 6BE055F0
	v_add_u32_e32 v240, s60, v240                              // 00000000BAE4: 69E1E03C
	v_add_u32_e32 v241, 1, v240                                // 00000000BAE8: 69E3E081
	v_add_u32_e32 v242, 2, v240                                // 00000000BAEC: 69E5E082
	v_add_u32_e32 v243, 3, v240                                // 00000000BAF0: 69E7E083
	v_cmp_le_u32_e64 s[40:41], v240, v41                       // 00000000BAF4: D0CB0028 000253F0
	v_add_u32_e32 v240, 64, v240                               // 00000000BAFC: 69E1E0C0
	s_nop 0                                                    // 00000000BB00: BF800000
	v_cndmask_b32_e64 v144, v69, v144, s[40:41]                // 00000000BB04: D1000090 00A32145
	v_cmp_le_u32_e64 s[40:41], v241, v41                       // 00000000BB0C: D0CB0028 000253F1
	v_add_u32_e32 v241, 64, v241                               // 00000000BB14: 69E3E2C0
	s_nop 0                                                    // 00000000BB18: BF800000
	v_cndmask_b32_e64 v145, v69, v145, s[40:41]                // 00000000BB1C: D1000091 00A32345
	v_cmp_le_u32_e64 s[40:41], v242, v41                       // 00000000BB24: D0CB0028 000253F2
	v_add_u32_e32 v242, 64, v242                               // 00000000BB2C: 69E5E4C0
	s_nop 0                                                    // 00000000BB30: BF800000
	v_cndmask_b32_e64 v146, v69, v146, s[40:41]                // 00000000BB34: D1000092 00A32545
	v_cmp_le_u32_e64 s[40:41], v243, v41                       // 00000000BB3C: D0CB0028 000253F3
	v_add_u32_e32 v243, 64, v243                               // 00000000BB44: 69E7E6C0
	s_nop 0                                                    // 00000000BB48: BF800000
	v_cndmask_b32_e64 v147, v69, v147, s[40:41]                // 00000000BB4C: D1000093 00A32745
	v_cmp_le_u32_e64 s[40:41], v240, v41                       // 00000000BB54: D0CB0028 000253F0
	v_add_u32_e32 v240, 64, v240                               // 00000000BB5C: 69E1E0C0
	s_nop 0                                                    // 00000000BB60: BF800000
	v_cndmask_b32_e64 v148, v69, v148, s[40:41]                // 00000000BB64: D1000094 00A32945
	v_cmp_le_u32_e64 s[40:41], v241, v41                       // 00000000BB6C: D0CB0028 000253F1
	v_add_u32_e32 v241, 64, v241                               // 00000000BB74: 69E3E2C0
	s_nop 0                                                    // 00000000BB78: BF800000
	v_cndmask_b32_e64 v149, v69, v149, s[40:41]                // 00000000BB7C: D1000095 00A32B45
	v_cmp_le_u32_e64 s[40:41], v242, v41                       // 00000000BB84: D0CB0028 000253F2
	v_add_u32_e32 v242, 64, v242                               // 00000000BB8C: 69E5E4C0
	s_nop 0                                                    // 00000000BB90: BF800000
	v_cndmask_b32_e64 v150, v69, v150, s[40:41]                // 00000000BB94: D1000096 00A32D45
	v_cmp_le_u32_e64 s[40:41], v243, v41                       // 00000000BB9C: D0CB0028 000253F3
	v_add_u32_e32 v243, 64, v243                               // 00000000BBA4: 69E7E6C0
	s_nop 0                                                    // 00000000BBA8: BF800000
	v_cndmask_b32_e64 v151, v69, v151, s[40:41]                // 00000000BBAC: D1000097 00A32F45
	v_cmp_le_u32_e64 s[40:41], v240, v41                       // 00000000BBB4: D0CB0028 000253F0
	v_add_u32_e32 v240, 64, v240                               // 00000000BBBC: 69E1E0C0
	s_nop 0                                                    // 00000000BBC0: BF800000
	v_cndmask_b32_e64 v152, v69, v152, s[40:41]                // 00000000BBC4: D1000098 00A33145
	v_cmp_le_u32_e64 s[40:41], v241, v41                       // 00000000BBCC: D0CB0028 000253F1
	v_add_u32_e32 v241, 64, v241                               // 00000000BBD4: 69E3E2C0
	s_nop 0                                                    // 00000000BBD8: BF800000
	v_cndmask_b32_e64 v153, v69, v153, s[40:41]                // 00000000BBDC: D1000099 00A33345
	v_cmp_le_u32_e64 s[40:41], v242, v41                       // 00000000BBE4: D0CB0028 000253F2
	v_add_u32_e32 v242, 64, v242                               // 00000000BBEC: 69E5E4C0
	s_nop 0                                                    // 00000000BBF0: BF800000
	v_cndmask_b32_e64 v154, v69, v154, s[40:41]                // 00000000BBF4: D100009A 00A33545
	v_cmp_le_u32_e64 s[40:41], v243, v41                       // 00000000BBFC: D0CB0028 000253F3
	v_add_u32_e32 v243, 64, v243                               // 00000000BC04: 69E7E6C0
	s_nop 0                                                    // 00000000BC08: BF800000
	v_cndmask_b32_e64 v155, v69, v155, s[40:41]                // 00000000BC0C: D100009B 00A33745
	v_cmp_le_u32_e64 s[40:41], v240, v41                       // 00000000BC14: D0CB0028 000253F0
	v_add_u32_e32 v240, 64, v240                               // 00000000BC1C: 69E1E0C0
	s_nop 0                                                    // 00000000BC20: BF800000
	v_cndmask_b32_e64 v156, v69, v156, s[40:41]                // 00000000BC24: D100009C 00A33945
	v_cmp_le_u32_e64 s[40:41], v241, v41                       // 00000000BC2C: D0CB0028 000253F1
	v_add_u32_e32 v241, 64, v241                               // 00000000BC34: 69E3E2C0
	s_nop 0                                                    // 00000000BC38: BF800000
	v_cndmask_b32_e64 v157, v69, v157, s[40:41]                // 00000000BC3C: D100009D 00A33B45
	v_cmp_le_u32_e64 s[40:41], v242, v41                       // 00000000BC44: D0CB0028 000253F2
	v_add_u32_e32 v242, 64, v242                               // 00000000BC4C: 69E5E4C0
	s_nop 0                                                    // 00000000BC50: BF800000
	v_cndmask_b32_e64 v158, v69, v158, s[40:41]                // 00000000BC54: D100009E 00A33D45
	v_cmp_le_u32_e64 s[40:41], v243, v41                       // 00000000BC5C: D0CB0028 000253F3
	v_add_u32_e32 v243, 64, v243                               // 00000000BC64: 69E7E6C0
	s_nop 0                                                    // 00000000BC68: BF800000
	v_cndmask_b32_e64 v159, v69, v159, s[40:41]                // 00000000BC6C: D100009F 00A33F45

000000000000bc74 <label_269D>:
	s_add_u32 s90, s91, s90                                    // 00000000BC74: 805A5A5B
	v_mov_b32_e32 v62, v144                                    // 00000000BC78: 7E7C0390
	v_max3_f32 v62, v144, v145, v62                            // 00000000BC7C: D1D3003E 04FB2390
	v_max3_f32 v62, v146, v147, v62                            // 00000000BC84: D1D3003E 04FB2792
	v_max3_f32 v62, v148, v149, v62                            // 00000000BC8C: D1D3003E 04FB2B94
	v_max3_f32 v62, v150, v151, v62                            // 00000000BC94: D1D3003E 04FB2F96
	v_max3_f32 v62, v152, v153, v62                            // 00000000BC9C: D1D3003E 04FB3398
	v_max3_f32 v62, v154, v155, v62                            // 00000000BCA4: D1D3003E 04FB379A
	v_max3_f32 v62, v156, v157, v62                            // 00000000BCAC: D1D3003E 04FB3B9C
	v_max3_f32 v62, v158, v159, v62                            // 00000000BCB4: D1D3003E 04FB3F9E
	ds_write_b32 v11, v62 offset:16896                         // 00000000BCBC: D81A4200 00003E0B
	v_mul_f32_e32 v232, v64, v232                              // 00000000BCC4: 0BD1D140
	v_mul_f32_e32 v233, v64, v233                              // 00000000BCC8: 0BD3D340
	v_mul_f32_e32 v234, v64, v234                              // 00000000BCCC: 0BD5D540
	v_mul_f32_e32 v235, v64, v235                              // 00000000BCD0: 0BD7D740
	v_mul_f32_e32 v236, v64, v236                              // 00000000BCD4: 0BD9D940
	v_mul_f32_e32 v237, v64, v237                              // 00000000BCD8: 0BDBDB40
	v_mul_f32_e32 v238, v64, v238                              // 00000000BCDC: 0BDDDD40
	v_mul_f32_e32 v239, v64, v239                              // 00000000BCE0: 0BDFDF40
	s_waitcnt lgkmcnt(0)                                       // 00000000BCE4: BF8CC07F
	s_barrier                                                  // 00000000BCE8: BF8A0000
	ds_read_b32 v80, v10 offset:16896                          // 00000000BCEC: D86C4200 5000000A
	ds_read_b32 v81, v10 offset:16960                          // 00000000BCF4: D86C4240 5100000A
	ds_read_b32 v82, v10 offset:17024                          // 00000000BCFC: D86C4280 5200000A
	ds_read_b32 v83, v10 offset:17088                          // 00000000BD04: D86C42C0 5300000A
	ds_read_b32 v84, v10 offset:17152                          // 00000000BD0C: D86C4300 5400000A
	ds_read_b32 v85, v10 offset:17216                          // 00000000BD14: D86C4340 5500000A
	ds_read_b32 v86, v10 offset:17280                          // 00000000BD1C: D86C4380 5600000A
	ds_read_b32 v87, v10 offset:17344                          // 00000000BD24: D86C43C0 5700000A
	ds_read_b32 v88, v10 offset:17408                          // 00000000BD2C: D86C4400 5800000A
	ds_read_b32 v89, v10 offset:17472                          // 00000000BD34: D86C4440 5900000A
	ds_read_b32 v90, v10 offset:17536                          // 00000000BD3C: D86C4480 5A00000A
	ds_read_b32 v91, v10 offset:17600                          // 00000000BD44: D86C44C0 5B00000A
	ds_read_b32 v92, v10 offset:17664                          // 00000000BD4C: D86C4500 5C00000A
	ds_read_b32 v93, v10 offset:17728                          // 00000000BD54: D86C4540 5D00000A
	ds_read_b32 v94, v10 offset:17792                          // 00000000BD5C: D86C4580 5E00000A
	ds_read_b32 v95, v10 offset:17856                          // 00000000BD64: D86C45C0 5F00000A
	v_mul_f32_e32 v200, v59, v200                              // 00000000BD6C: 0B91913B
	v_mul_f32_e32 v201, v59, v201                              // 00000000BD70: 0B93933B
	v_mul_f32_e32 v202, v59, v202                              // 00000000BD74: 0B95953B
	v_mul_f32_e32 v203, v59, v203                              // 00000000BD78: 0B97973B
	v_mul_f32_e32 v204, v59, v204                              // 00000000BD7C: 0B99993B
	v_mul_f32_e32 v205, v59, v205                              // 00000000BD80: 0B9B9B3B
	v_mul_f32_e32 v206, v59, v206                              // 00000000BD84: 0B9D9D3B
	v_mul_f32_e32 v207, v59, v207                              // 00000000BD88: 0B9F9F3B
	s_waitcnt lgkmcnt(0)                                       // 00000000BD8C: BF8CC07F
	v_max3_f32 v62, v80, v81, v62                              // 00000000BD90: D1D3003E 04FAA350
	v_max3_f32 v62, v82, v83, v62                              // 00000000BD98: D1D3003E 04FAA752
	v_max3_f32 v62, v84, v85, v62                              // 00000000BDA0: D1D3003E 04FAAB54
	v_max3_f32 v62, v86, v87, v62                              // 00000000BDA8: D1D3003E 04FAAF56
	v_max3_f32 v62, v88, v89, v62                              // 00000000BDB0: D1D3003E 04FAB358
	v_max3_f32 v62, v90, v91, v62                              // 00000000BDB8: D1D3003E 04FAB75A
	v_max3_f32 v62, v92, v93, v62                              // 00000000BDC0: D1D3003E 04FABB5C
	v_max3_f32 v62, v94, v95, v62                              // 00000000BDC8: D1D3003E 04FABF5E
	v_mov_b32_e32 v41, 0xff800000                              // 00000000BDD0: 7E5202FF FF800000
	v_cmp_eq_u32_e64 s[40:41], v41, v15                        // 00000000BDD8: D0CA0028 00021F29
	s_nop 1                                                    // 00000000BDE0: BF800001
	v_max_f32_e32 v18, v62, v15                                // 00000000BDE4: 16241F3E
	v_mul_f32_e32 v67, s64, v18                                // 00000000BDE8: 0A862440
	v_fma_f32 v144, v144, s64, -v67                            // 00000000BDEC: D1CB0090 850C8190
	v_fma_f32 v145, v145, s64, -v67                            // 00000000BDF4: D1CB0091 850C8191
	v_fma_f32 v146, v146, s64, -v67                            // 00000000BDFC: D1CB0092 850C8192
	v_fma_f32 v147, v147, s64, -v67                            // 00000000BE04: D1CB0093 850C8193
	v_fma_f32 v148, v148, s64, -v67                            // 00000000BE0C: D1CB0094 850C8194
	v_fma_f32 v149, v149, s64, -v67                            // 00000000BE14: D1CB0095 850C8195
	v_fma_f32 v150, v150, s64, -v67                            // 00000000BE1C: D1CB0096 850C8196
	v_fma_f32 v151, v151, s64, -v67                            // 00000000BE24: D1CB0097 850C8197
	v_fma_f32 v152, v152, s64, -v67                            // 00000000BE2C: D1CB0098 850C8198
	v_fma_f32 v153, v153, s64, -v67                            // 00000000BE34: D1CB0099 850C8199
	v_fma_f32 v154, v154, s64, -v67                            // 00000000BE3C: D1CB009A 850C819A
	v_fma_f32 v155, v155, s64, -v67                            // 00000000BE44: D1CB009B 850C819B
	v_fma_f32 v156, v156, s64, -v67                            // 00000000BE4C: D1CB009C 850C819C
	v_fma_f32 v157, v157, s64, -v67                            // 00000000BE54: D1CB009D 850C819D
	v_fma_f32 v158, v158, s64, -v67                            // 00000000BE5C: D1CB009E 850C819E
	v_fma_f32 v159, v159, s64, -v67                            // 00000000BE64: D1CB009F 850C819F
	v_exp_f32_e32 v144, v144                                   // 00000000BE6C: 7F204190
	v_exp_f32_e32 v145, v145                                   // 00000000BE70: 7F224191
	v_exp_f32_e32 v146, v146                                   // 00000000BE74: 7F244192
	v_exp_f32_e32 v147, v147                                   // 00000000BE78: 7F264193
	v_exp_f32_e32 v148, v148                                   // 00000000BE7C: 7F284194
	v_exp_f32_e32 v149, v149                                   // 00000000BE80: 7F2A4195
	v_exp_f32_e32 v150, v150                                   // 00000000BE84: 7F2C4196
	v_exp_f32_e32 v151, v151                                   // 00000000BE88: 7F2E4197
	v_exp_f32_e32 v152, v152                                   // 00000000BE8C: 7F304198
	v_exp_f32_e32 v153, v153                                   // 00000000BE90: 7F324199
	v_exp_f32_e32 v154, v154                                   // 00000000BE94: 7F34419A
	v_exp_f32_e32 v155, v155                                   // 00000000BE98: 7F36419B
	v_exp_f32_e32 v156, v156                                   // 00000000BE9C: 7F38419C
	v_exp_f32_e32 v157, v157                                   // 00000000BEA0: 7F3A419D
	v_exp_f32_e32 v158, v158                                   // 00000000BEA4: 7F3C419E
	v_exp_f32_e32 v159, v159                                   // 00000000BEA8: 7F3E419F
	v_mul_f32_dpp v240, v252, v144 quad_perm:[0,0,0,0] row_mask:0xf bank_mask:0xf// 00000000BEAC: 0BE120FA FF0000FC
	v_mul_f32_dpp v241, v252, v145 quad_perm:[1,1,1,1] row_mask:0xf bank_mask:0xf// 00000000BEB4: 0BE322FA FF0055FC
	v_mul_f32_dpp v242, v252, v146 quad_perm:[2,2,2,2] row_mask:0xf bank_mask:0xf// 00000000BEBC: 0BE524FA FF00AAFC
	v_mul_f32_dpp v243, v252, v147 quad_perm:[3,3,3,3] row_mask:0xf bank_mask:0xf// 00000000BEC4: 0BE726FA FF00FFFC
	v_mul_f32_dpp v244, v253, v148 quad_perm:[0,0,0,0] row_mask:0xf bank_mask:0xf// 00000000BECC: 0BE928FA FF0000FD
	v_mul_f32_dpp v245, v253, v149 quad_perm:[1,1,1,1] row_mask:0xf bank_mask:0xf// 00000000BED4: 0BEB2AFA FF0055FD
	v_mul_f32_dpp v246, v253, v150 quad_perm:[2,2,2,2] row_mask:0xf bank_mask:0xf// 00000000BEDC: 0BED2CFA FF00AAFD
	v_mul_f32_dpp v247, v253, v151 quad_perm:[3,3,3,3] row_mask:0xf bank_mask:0xf// 00000000BEE4: 0BEF2EFA FF00FFFD
	v_mul_f32_dpp v248, v254, v152 quad_perm:[0,0,0,0] row_mask:0xf bank_mask:0xf// 00000000BEEC: 0BF130FA FF0000FE
	v_mul_f32_dpp v249, v254, v153 quad_perm:[1,1,1,1] row_mask:0xf bank_mask:0xf// 00000000BEF4: 0BF332FA FF0055FE
	v_mul_f32_dpp v250, v254, v154 quad_perm:[2,2,2,2] row_mask:0xf bank_mask:0xf// 00000000BEFC: 0BF534FA FF00AAFE
	v_mul_f32_dpp v251, v254, v155 quad_perm:[3,3,3,3] row_mask:0xf bank_mask:0xf// 00000000BF04: 0BF736FA FF00FFFE
	v_mul_f32_dpp v252, v255, v156 quad_perm:[0,0,0,0] row_mask:0xf bank_mask:0xf// 00000000BF0C: 0BF938FA FF0000FF
	v_mul_f32_dpp v253, v255, v157 quad_perm:[1,1,1,1] row_mask:0xf bank_mask:0xf// 00000000BF14: 0BFB3AFA FF0055FF
	v_mul_f32_dpp v254, v255, v158 quad_perm:[2,2,2,2] row_mask:0xf bank_mask:0xf// 00000000BF1C: 0BFD3CFA FF00AAFF
	v_mul_f32_dpp v255, v255, v159 quad_perm:[3,3,3,3] row_mask:0xf bank_mask:0xf// 00000000BF24: 0BFF3EFA FF00FFFF
	v_mov_b32_e32 v62, 0x358637bd                              // 00000000BF2C: 7E7C02FF 358637BD
	v_max3_f32 v62, |v240|, |v241|, v62                        // 00000000BF34: D1D3033E 04FBE3F0
	v_max3_f32 v62, |v242|, |v243|, v62                        // 00000000BF3C: D1D3033E 04FBE7F2
	v_max3_f32 v62, |v244|, |v245|, v62                        // 00000000BF44: D1D3033E 04FBEBF4
	v_max3_f32 v62, |v246|, |v247|, v62                        // 00000000BF4C: D1D3033E 04FBEFF6
	v_max3_f32 v62, |v248|, |v249|, v62                        // 00000000BF54: D1D3033E 04FBF3F8
	v_max3_f32 v62, |v250|, |v251|, v62                        // 00000000BF5C: D1D3033E 04FBF7FA
	v_max3_f32 v62, |v252|, |v253|, v62                        // 00000000BF64: D1D3033E 04FBFBFC
	v_max3_f32 v62, |v254|, |v255|, v62                        // 00000000BF6C: D1D3033E 04FBFFFE
	ds_write_b32 v11, v62 offset:20992                         // 00000000BF74: D81A5200 00003E0B
	v_sub_f32_e32 v64, v15, v18                                // 00000000BF7C: 0480250F
	v_cndmask_b32_e64 v64, v64, 0, s[40:41]                    // 00000000BF80: D1000040 00A10140
	v_mov_b32_e32 v15, v18                                     // 00000000BF88: 7E1E0312
	v_mul_f32_e32 v64, s64, v64                                // 00000000BF8C: 0A808040
	v_exp_f32_e32 v64, v64                                     // 00000000BF90: 7E804140
	s_waitcnt lgkmcnt(0)                                       // 00000000BF94: BF8CC07F
	s_barrier                                                  // 00000000BF98: BF8A0000
	ds_read_b32 v80, v10 offset:20992                          // 00000000BF9C: D86C5200 5000000A
	ds_read_b32 v81, v10 offset:21056                          // 00000000BFA4: D86C5240 5100000A
	ds_read_b32 v82, v10 offset:21120                          // 00000000BFAC: D86C5280 5200000A
	ds_read_b32 v83, v10 offset:21184                          // 00000000BFB4: D86C52C0 5300000A
	ds_read_b32 v84, v10 offset:21248                          // 00000000BFBC: D86C5300 5400000A
	ds_read_b32 v85, v10 offset:21312                          // 00000000BFC4: D86C5340 5500000A
	ds_read_b32 v86, v10 offset:21376                          // 00000000BFCC: D86C5380 5600000A
	ds_read_b32 v87, v10 offset:21440                          // 00000000BFD4: D86C53C0 5700000A
	ds_read_b32 v88, v10 offset:21504                          // 00000000BFDC: D86C5400 5800000A
	ds_read_b32 v89, v10 offset:21568                          // 00000000BFE4: D86C5440 5900000A
	ds_read_b32 v90, v10 offset:21632                          // 00000000BFEC: D86C5480 5A00000A
	ds_read_b32 v91, v10 offset:21696                          // 00000000BFF4: D86C54C0 5B00000A
	ds_read_b32 v92, v10 offset:21760                          // 00000000BFFC: D86C5500 5C00000A
	ds_read_b32 v93, v10 offset:21824                          // 00000000C004: D86C5540 5D00000A
	ds_read_b32 v94, v10 offset:21888                          // 00000000C00C: D86C5580 5E00000A
	ds_read_b32 v95, v10 offset:21952                          // 00000000C014: D86C55C0 5F00000A
	v_mul_f32_e32 v48, v64, v48                                // 00000000C01C: 0A606140
	v_mov_b32_e32 v18, v144                                    // 00000000C020: 7E240390
	v_add_f32_e32 v18, v145, v18                               // 00000000C024: 02242591
	v_add_f32_e32 v18, v146, v18                               // 00000000C028: 02242592
	v_add_f32_e32 v18, v147, v18                               // 00000000C02C: 02242593
	v_add_f32_e32 v18, v148, v18                               // 00000000C030: 02242594
	v_add_f32_e32 v18, v149, v18                               // 00000000C034: 02242595
	v_add_f32_e32 v18, v150, v18                               // 00000000C038: 02242596
	v_add_f32_e32 v18, v151, v18                               // 00000000C03C: 02242597
	v_add_f32_e32 v18, v152, v18                               // 00000000C040: 02242598
	v_add_f32_e32 v18, v153, v18                               // 00000000C044: 02242599
	v_add_f32_e32 v18, v154, v18                               // 00000000C048: 0224259A
	v_add_f32_e32 v18, v155, v18                               // 00000000C04C: 0224259B
	v_add_f32_e32 v18, v156, v18                               // 00000000C050: 0224259C
	v_add_f32_e32 v18, v157, v18                               // 00000000C054: 0224259D
	v_add_f32_e32 v18, v158, v18                               // 00000000C058: 0224259E
	v_add_f32_e32 v18, v159, v18                               // 00000000C05C: 0224259F
	v_add_f32_e32 v48, v18, v48                                // 00000000C060: 02606112
	s_waitcnt lgkmcnt(0)                                       // 00000000C064: BF8CC07F
	v_max3_f32 v62, |v80|, |v81|, v62                          // 00000000C068: D1D3033E 04FAA350
	v_max3_f32 v62, |v82|, |v83|, v62                          // 00000000C070: D1D3033E 04FAA752
	v_max3_f32 v62, |v84|, |v85|, v62                          // 00000000C078: D1D3033E 04FAAB54
	v_max3_f32 v62, |v86|, |v87|, v62                          // 00000000C080: D1D3033E 04FAAF56
	v_max3_f32 v62, |v88|, |v89|, v62                          // 00000000C088: D1D3033E 04FAB358
	v_max3_f32 v62, |v90|, |v91|, v62                          // 00000000C090: D1D3033E 04FAB75A
	v_max3_f32 v62, |v92|, |v93|, v62                          // 00000000C098: D1D3033E 04FABB5C
	v_max3_f32 v62, |v94|, |v95|, v62                          // 00000000C0A0: D1D3033E 04FABF5E
	s_nop 2                                                    // 00000000C0A8: BF800002
	v_rcp_f32_e32 v62, v62                                     // 00000000C0AC: 7E7C453E
	s_nop 1                                                    // 00000000C0B0: BF800001
	v_mul_f32_e32 v62, 0x43e00000, v62                         // 00000000C0B4: 0A7C7CFF 43E00000
	v_mul_f32_e32 v144, v62, v240                              // 00000000C0BC: 0B21E13E
	v_mul_f32_e32 v145, v62, v241                              // 00000000C0C0: 0B23E33E
	v_mul_f32_e32 v146, v62, v242                              // 00000000C0C4: 0B25E53E
	v_mul_f32_e32 v147, v62, v243                              // 00000000C0C8: 0B27E73E
	v_mul_f32_e32 v148, v62, v244                              // 00000000C0CC: 0B29E93E
	v_mul_f32_e32 v149, v62, v245                              // 00000000C0D0: 0B2BEB3E
	v_mul_f32_e32 v150, v62, v246                              // 00000000C0D4: 0B2DED3E
	v_mul_f32_e32 v151, v62, v247                              // 00000000C0D8: 0B2FEF3E
	v_mul_f32_e32 v152, v62, v248                              // 00000000C0DC: 0B31F13E
	v_mul_f32_e32 v153, v62, v249                              // 00000000C0E0: 0B33F33E
	v_mul_f32_e32 v154, v62, v250                              // 00000000C0E4: 0B35F53E
	v_mul_f32_e32 v155, v62, v251                              // 00000000C0E8: 0B37F73E
	v_mul_f32_e32 v156, v62, v252                              // 00000000C0EC: 0B39F93E
	v_mul_f32_e32 v157, v62, v253                              // 00000000C0F0: 0B3BFB3E
	v_mul_f32_e32 v158, v62, v254                              // 00000000C0F4: 0B3DFD3E
	v_mul_f32_e32 v159, v62, v255                              // 00000000C0F8: 0B3FFF3E
	v_cvt_pk_fp8_f32 v144, v144, v145                          // 00000000C0FC: D2A20090 00032390
	v_cvt_pk_fp8_f32 v144, v146, v147 op_sel:[0,0,1]           // 00000000C104: D2A24090 00032792
	v_cvt_pk_fp8_f32 v145, v148, v149                          // 00000000C10C: D2A20091 00032B94
	v_cvt_pk_fp8_f32 v145, v150, v151 op_sel:[0,0,1]           // 00000000C114: D2A24091 00032F96
	v_cvt_pk_fp8_f32 v146, v152, v153                          // 00000000C11C: D2A20092 00033398
	v_cvt_pk_fp8_f32 v146, v154, v155 op_sel:[0,0,1]           // 00000000C124: D2A24092 0003379A
	v_cvt_pk_fp8_f32 v147, v156, v157                          // 00000000C12C: D2A20093 00033B9C
	v_cvt_pk_fp8_f32 v147, v158, v159 op_sel:[0,0,1]           // 00000000C134: D2A24093 00033F9E
	ds_write_b32 v13, v144 offset:29184                        // 00000000C13C: D81A7200 0000900D
	ds_write_b32 v13, v145 offset:30208                        // 00000000C144: D81A7600 0000910D
	ds_write_b32 v13, v146 offset:31232                        // 00000000C14C: D81A7A00 0000920D
	ds_write_b32 v13, v147 offset:32256                        // 00000000C154: D81A7E00 0000930D
	v_add_f32_e32 v232, v232, v200                             // 00000000C15C: 03D191E8
	v_add_f32_e32 v233, v233, v201                             // 00000000C160: 03D393E9
	v_add_f32_e32 v234, v234, v202                             // 00000000C164: 03D595EA
	v_add_f32_e32 v235, v235, v203                             // 00000000C168: 03D797EB
	v_add_f32_e32 v236, v236, v204                             // 00000000C16C: 03D999EC
	v_add_f32_e32 v237, v237, v205                             // 00000000C170: 03DB9BED
	v_add_f32_e32 v238, v238, v206                             // 00000000C174: 03DD9DEE
	v_add_f32_e32 v239, v239, v207                             // 00000000C178: 03DF9FEF
	v_rcp_f32_e32 v59, v62                                     // 00000000C17C: 7E76453E
	s_waitcnt lgkmcnt(0)                                       // 00000000C180: BF8CC07F
	s_barrier                                                  // 00000000C184: BF8A0000
	ds_read_b64 v[144:145], v12 offset:29184                   // 00000000C188: D8EC7200 9000000C
	ds_read_b64 v[146:147], v12 offset:29312                   // 00000000C190: D8EC7280 9200000C
	ds_read_b64 v[148:149], v12 offset:30208                   // 00000000C198: D8EC7600 9400000C
	ds_read_b64 v[150:151], v12 offset:30336                   // 00000000C1A0: D8EC7680 9600000C
	ds_read_b64 v[152:153], v12 offset:31232                   // 00000000C1A8: D8EC7A00 9800000C
	ds_read_b64 v[154:155], v12 offset:31360                   // 00000000C1B0: D8EC7A80 9A00000C
	ds_read_b64 v[156:157], v12 offset:32256                   // 00000000C1B8: D8EC7E00 9C00000C
	ds_read_b64 v[158:159], v12 offset:32384                   // 00000000C1C0: D8EC7E80 9E00000C
	s_waitcnt vmcnt(15)                                        // 00000000C1C8: BF8C0F7F
	v_mfma_f32_16x16x32_fp8_fp8 v[192:195], a[64:65], v[128:129], 0// 00000000C1CC: D3F300C0 0A030140
	v_mfma_f32_16x16x32_fp8_fp8 v[192:195], a[66:67], v[130:131], v[192:195]// 00000000C1D4: D3F300C0 0F030542
	buffer_load_dwordx4 a[112:115], v37, s[20:23], 0 offen offset:1024// 00000000C1DC: E05C1400 80857025
	v_mfma_f32_16x16x32_fp8_fp8 v[192:195], a[68:69], v[132:133], v[192:195]// 00000000C1E4: D3F300C0 0F030944
	v_mfma_f32_16x16x32_fp8_fp8 v[192:195], a[70:71], v[134:135], v[192:195]// 00000000C1EC: D3F300C0 0F030D46
	v_mfma_f32_16x16x32_fp8_fp8 v[192:195], a[72:73], v[136:137], v[192:195]// 00000000C1F4: D3F300C0 0F031148
	v_mfma_f32_16x16x32_fp8_fp8 v[192:195], a[74:75], v[138:139], v[192:195]// 00000000C1FC: D3F300C0 0F03154A
	buffer_load_dwordx4 a[116:119], v38, s[20:23], 0 offen offset:1024// 00000000C204: E05C1400 80857426
	v_mfma_f32_16x16x32_fp8_fp8 v[192:195], a[76:77], v[140:141], v[192:195]// 00000000C20C: D3F300C0 0F03194C
	v_mfma_f32_16x16x32_fp8_fp8 v[192:195], a[78:79], v[142:143], v[192:195]// 00000000C214: D3F300C0 0F031D4E
	v_mfma_f32_16x16x32_fp8_fp8 v[196:199], a[80:81], v[128:129], 0// 00000000C21C: D3F300C4 0A030150
	v_mfma_f32_16x16x32_fp8_fp8 v[196:199], a[82:83], v[130:131], v[196:199]// 00000000C224: D3F300C4 0F130552
	buffer_load_dwordx4 a[120:123], v39, s[20:23], 0 offen offset:1024// 00000000C22C: E05C1400 80857827
	v_mfma_f32_16x16x32_fp8_fp8 v[196:199], a[84:85], v[132:133], v[196:199]// 00000000C234: D3F300C4 0F130954
	v_mfma_f32_16x16x32_fp8_fp8 v[196:199], a[86:87], v[134:135], v[196:199]// 00000000C23C: D3F300C4 0F130D56
	v_mfma_f32_16x16x32_fp8_fp8 v[196:199], a[88:89], v[136:137], v[196:199]// 00000000C244: D3F300C4 0F131158
	v_mfma_f32_16x16x32_fp8_fp8 v[196:199], a[90:91], v[138:139], v[196:199]// 00000000C24C: D3F300C4 0F13155A
	buffer_load_dwordx4 a[124:127], v40, s[20:23], 0 offen offset:1024// 00000000C254: E05C1400 80857C28
	v_mfma_f32_16x16x32_fp8_fp8 v[196:199], a[92:93], v[140:141], v[196:199]// 00000000C25C: D3F300C4 0F13195C
	s_lshr_b32 s57, s70, 4                                     // 00000000C264: 8F398446
	s_add_u32 s57, 48, s57                                     // 00000000C268: 803939B0
	v_mfma_f32_16x16x32_fp8_fp8 v[196:199], a[94:95], v[142:143], v[196:199]// 00000000C26C: D3F300C4 0F131D5E
	s_cmp_ge_u32 s57, s73                                      // 00000000C274: BF094939
	s_cselect_b32 s56, 0, s56                                  // 00000000C278: 85383880
	v_mfma_f32_16x16x32_fp8_fp8 v[200:203], a[64:65], v[144:145], 0// 00000000C27C: D3F300C8 0A032140
	v_mfma_f32_16x16x32_fp8_fp8 v[200:203], a[66:67], v[146:147], v[200:203]// 00000000C284: D3F300C8 0F232542
	v_mfma_f32_16x16x32_fp8_fp8 v[200:203], a[68:69], v[148:149], v[200:203]// 00000000C28C: D3F300C8 0F232944
	v_mfma_f32_16x16x32_fp8_fp8 v[200:203], a[70:71], v[150:151], v[200:203]// 00000000C294: D3F300C8 0F232D46
	v_mfma_f32_16x16x32_fp8_fp8 v[200:203], a[72:73], v[152:153], v[200:203]// 00000000C29C: D3F300C8 0F233148
	v_mfma_f32_16x16x32_fp8_fp8 v[200:203], a[74:75], v[154:155], v[200:203]// 00000000C2A4: D3F300C8 0F23354A
	v_mfma_f32_16x16x32_fp8_fp8 v[200:203], a[76:77], v[156:157], v[200:203]// 00000000C2AC: D3F300C8 0F23394C
	v_mfma_f32_16x16x32_fp8_fp8 v[200:203], a[78:79], v[158:159], v[200:203]// 00000000C2B4: D3F300C8 0F233D4E
	v_mfma_f32_16x16x32_fp8_fp8 v[204:207], a[80:81], v[144:145], 0// 00000000C2BC: D3F300CC 0A032150
	v_mfma_f32_16x16x32_fp8_fp8 v[204:207], a[82:83], v[146:147], v[204:207]// 00000000C2C4: D3F300CC 0F332552
	v_mfma_f32_16x16x32_fp8_fp8 v[204:207], a[84:85], v[148:149], v[204:207]// 00000000C2CC: D3F300CC 0F332954
	v_mfma_f32_16x16x32_fp8_fp8 v[204:207], a[86:87], v[150:151], v[204:207]// 00000000C2D4: D3F300CC 0F332D56
	v_mfma_f32_16x16x32_fp8_fp8 v[204:207], a[88:89], v[152:153], v[204:207]// 00000000C2DC: D3F300CC 0F333158
	v_mfma_f32_16x16x32_fp8_fp8 v[204:207], a[90:91], v[154:155], v[204:207]// 00000000C2E4: D3F300CC 0F33355A
	v_mfma_f32_16x16x32_fp8_fp8 v[204:207], a[92:93], v[156:157], v[204:207]// 00000000C2EC: D3F300CC 0F33395C
	v_mfma_f32_16x16x32_fp8_fp8 v[204:207], a[94:95], v[158:159], v[204:207]// 00000000C2F4: D3F300CC 0F333D5E
	v_add_u32_e32 v1, s56, v1                                  // 00000000C2FC: 68020238
	s_addk_i32 s70, 0x100                                      // 00000000C300: B7460100
	s_cmp_lt_i32 s70, s71                                      // 00000000C304: BF044746
	s_cbranch_scc0 label_2D6D                                  // 00000000C308: BF84052A
	s_waitcnt vmcnt(8) lgkmcnt(0)                              // 00000000C30C: BF8C0078
	v_mul_u32_u24_dpp v41, v19, v68 row_newbcast:0 row_mask:0xf bank_mask:0xf// 00000000C310: 105288FA FF015013
	v_mul_u32_u24_dpp v42, v19, v68 row_newbcast:4 row_mask:0xf bank_mask:0xf// 00000000C318: 105488FA FF015413
	v_mul_u32_u24_dpp v43, v19, v68 row_newbcast:8 row_mask:0xf bank_mask:0xf// 00000000C320: 105688FA FF015813
	v_mul_u32_u24_dpp v44, v19, v68 row_newbcast:12 row_mask:0xf bank_mask:0xf// 00000000C328: 105888FA FF015C13
	v_add_u32_e32 v25, v41, v6                                 // 00000000C330: 68320D29
	v_add_u32_e32 v26, v42, v6                                 // 00000000C334: 68340D2A
	v_add_u32_e32 v27, v43, v6                                 // 00000000C338: 68360D2B
	v_add_u32_e32 v28, v44, v6                                 // 00000000C33C: 68380D2C
	v_mul_u32_u24_dpp v41, v19, v78 quad_perm:[0,0,0,0] row_mask:0xf bank_mask:0xf// 00000000C340: 10529CFA FF000013
	v_add_u32_e32 v2, v41, v74                                 // 00000000C348: 68049529
	v_mul_u32_u24_dpp v41, v19, v78 quad_perm:[0,0,0,0] row_mask:0xf bank_mask:0xf// 00000000C34C: 10529CFA FF000013
	v_add_u32_e32 v70, v41, v75                                // 00000000C354: 688C9729
	v_mfma_f32_16x16x32_fp8_fp8 v[128:131], a[32:33], v[96:97], 0// 00000000C358: D3F30080 0A02C120
	v_mfma_f32_16x16x32_fp8_fp8 v[128:131], a[34:35], v[98:99], v[128:131]// 00000000C360: D3F30080 0E02C522
	buffer_load_dwordx4 a[0:3], v25, s[16:19], 0 offen         // 00000000C368: E05C1000 80840019
	v_mfma_f32_16x16x32_fp8_fp8 v[128:131], a[36:37], v[100:101], v[128:131]// 00000000C370: D3F30080 0E02C924
	v_mfma_f32_16x16x32_fp8_fp8 v[128:131], a[38:39], v[102:103], v[128:131]// 00000000C378: D3F30080 0E02CD26
	buffer_load_dword v20, v1, s[24:27], 0 offen               // 00000000C380: E0501000 80061401
	v_mfma_f32_16x16x32_fp8_fp8 v[132:135], a[40:41], v[96:97], 0// 00000000C388: D3F30084 0A02C128
	v_mfma_f32_16x16x32_fp8_fp8 v[132:135], a[42:43], v[98:99], v[132:135]// 00000000C390: D3F30084 0E12C52A
	buffer_load_dwordx4 a[4:7], v25, s[16:19], 0 offen offset:1024// 00000000C398: E05C1400 80840419
	v_mfma_f32_16x16x32_fp8_fp8 v[132:135], a[44:45], v[100:101], v[132:135]// 00000000C3A0: D3F30084 0E12C92C
	v_mfma_f32_16x16x32_fp8_fp8 v[132:135], a[46:47], v[102:103], v[132:135]// 00000000C3A8: D3F30084 0E12CD2E
	v_mfma_f32_16x16x32_fp8_fp8 v[136:139], a[48:49], v[96:97], 0// 00000000C3B0: D3F30088 0A02C130
	v_mfma_f32_16x16x32_fp8_fp8 v[136:139], a[50:51], v[98:99], v[136:139]// 00000000C3B8: D3F30088 0E22C532
	buffer_load_dwordx4 a[8:11], v26, s[16:19], 0 offen        // 00000000C3C0: E05C1000 8084081A
	v_mfma_f32_16x16x32_fp8_fp8 v[136:139], a[52:53], v[100:101], v[136:139]// 00000000C3C8: D3F30088 0E22C934
	v_mfma_f32_16x16x32_fp8_fp8 v[136:139], a[54:55], v[102:103], v[136:139]// 00000000C3D0: D3F30088 0E22CD36
	v_mfma_f32_16x16x32_fp8_fp8 v[140:143], a[56:57], v[96:97], 0// 00000000C3D8: D3F3008C 0A02C138
	v_mfma_f32_16x16x32_fp8_fp8 v[140:143], a[58:59], v[98:99], v[140:143]// 00000000C3E0: D3F3008C 0E32C53A
	buffer_load_dwordx4 a[12:15], v26, s[16:19], 0 offen offset:1024// 00000000C3E8: E05C1400 80840C1A
	v_mfma_f32_16x16x32_fp8_fp8 v[140:143], a[60:61], v[100:101], v[140:143]// 00000000C3F0: D3F3008C 0E32C93C
	v_mfma_f32_16x16x32_fp8_fp8 v[140:143], a[62:63], v[102:103], v[140:143]// 00000000C3F8: D3F3008C 0E32CD3E
	v_mfma_f32_16x16x32_fp8_fp8 v[144:147], a[32:33], v[104:105], 0// 00000000C400: D3F30090 0A02D120
	v_mfma_f32_16x16x32_fp8_fp8 v[144:147], a[34:35], v[106:107], v[144:147]// 00000000C408: D3F30090 0E42D522
	v_mfma_f32_16x16x32_fp8_fp8 v[144:147], a[36:37], v[108:109], v[144:147]// 00000000C410: D3F30090 0E42D924
	v_mfma_f32_16x16x32_fp8_fp8 v[144:147], a[38:39], v[110:111], v[144:147]// 00000000C418: D3F30090 0E42DD26
	v_mfma_f32_16x16x32_fp8_fp8 v[148:151], a[40:41], v[104:105], 0// 00000000C420: D3F30094 0A02D128
	v_mfma_f32_16x16x32_fp8_fp8 v[148:151], a[42:43], v[106:107], v[148:151]// 00000000C428: D3F30094 0E52D52A
	v_mfma_f32_16x16x32_fp8_fp8 v[148:151], a[44:45], v[108:109], v[148:151]// 00000000C430: D3F30094 0E52D92C
	v_mfma_f32_16x16x32_fp8_fp8 v[148:151], a[46:47], v[110:111], v[148:151]// 00000000C438: D3F30094 0E52DD2E
	v_mfma_f32_16x16x32_fp8_fp8 v[152:155], a[48:49], v[104:105], 0// 00000000C440: D3F30098 0A02D130
	v_mfma_f32_16x16x32_fp8_fp8 v[152:155], a[50:51], v[106:107], v[152:155]// 00000000C448: D3F30098 0E62D532
	v_mfma_f32_16x16x32_fp8_fp8 v[152:155], a[52:53], v[108:109], v[152:155]// 00000000C450: D3F30098 0E62D934
	v_mfma_f32_16x16x32_fp8_fp8 v[152:155], a[54:55], v[110:111], v[152:155]// 00000000C458: D3F30098 0E62DD36
	v_mfma_f32_16x16x32_fp8_fp8 v[156:159], a[56:57], v[104:105], 0// 00000000C460: D3F3009C 0A02D138
	v_mfma_f32_16x16x32_fp8_fp8 v[156:159], a[58:59], v[106:107], v[156:159]// 00000000C468: D3F3009C 0E72D53A
	v_mfma_f32_16x16x32_fp8_fp8 v[156:159], a[60:61], v[108:109], v[156:159]// 00000000C470: D3F3009C 0E72D93C
	v_mfma_f32_16x16x32_fp8_fp8 v[156:159], a[62:63], v[110:111], v[156:159]// 00000000C478: D3F3009C 0E72DD3E
	buffer_load_dword v52, v2, s[32:35], 0 offen               // 00000000C480: E0501000 80083402
	v_mov_b32_dpp v41, v53 row_shr:4 row_mask:0xf bank_mask:0xf// 00000000C488: 7E5202FA FF011435
	v_mov_b32_dpp v42, v53 row_shl:4 row_mask:0xf bank_mask:0xf// 00000000C490: 7E5402FA FF010435
	v_cndmask_b32_e64 v248, v53, v41, s[44:45]                 // 00000000C498: D10000F8 00B25335
	v_cndmask_b32_e64 v249, v42, v53, s[44:45]                 // 00000000C4A0: D10000F9 00B26B2A
	v_mov_b32_dpp v41, v248 row_shr:8 row_mask:0xf bank_mask:0xf// 00000000C4A8: 7E5202FA FF0118F8
	v_mov_b32_dpp v42, v248 row_shl:8 row_mask:0xf bank_mask:0xf// 00000000C4B0: 7E5402FA FF0108F8
	v_mov_b32_dpp v43, v249 row_shr:8 row_mask:0xf bank_mask:0xf// 00000000C4B8: 7E5602FA FF0118F9
	v_mov_b32_dpp v44, v249 row_shl:8 row_mask:0xf bank_mask:0xf// 00000000C4C0: 7E5802FA FF0108F9
	v_mov_b32_e32 v45, v248                                    // 00000000C4C8: 7E5A03F8
	v_mov_b32_e32 v46, v249                                    // 00000000C4CC: 7E5C03F9
	v_cndmask_b32_e64 v248, v45, v41, s[42:43]                 // 00000000C4D0: D10000F8 00AA532D
	v_cndmask_b32_e64 v250, v45, v42, s[78:79]                 // 00000000C4D8: D10000FA 013A552D
	v_cndmask_b32_e64 v249, v46, v43, s[42:43]                 // 00000000C4E0: D10000F9 00AA572E
	v_cndmask_b32_e64 v251, v46, v44, s[78:79]                 // 00000000C4E8: D10000FB 013A592E
	v_mov_b32_dpp v41, v73 row_shr:4 row_mask:0xf bank_mask:0xf// 00000000C4F0: 7E5202FA FF011449
	v_mov_b32_dpp v42, v73 row_shl:4 row_mask:0xf bank_mask:0xf// 00000000C4F8: 7E5402FA FF010449
	v_cndmask_b32_e64 v252, v73, v41, s[44:45]                 // 00000000C500: D10000FC 00B25349
	v_cndmask_b32_e64 v253, v42, v73, s[44:45]                 // 00000000C508: D10000FD 00B2932A
	v_mov_b32_dpp v41, v252 row_shr:8 row_mask:0xf bank_mask:0xf// 00000000C510: 7E5202FA FF0118FC
	v_mov_b32_dpp v42, v252 row_shl:8 row_mask:0xf bank_mask:0xf// 00000000C518: 7E5402FA FF0108FC
	v_mov_b32_dpp v43, v253 row_shr:8 row_mask:0xf bank_mask:0xf// 00000000C520: 7E5602FA FF0118FD
	v_mov_b32_dpp v44, v253 row_shl:8 row_mask:0xf bank_mask:0xf// 00000000C528: 7E5802FA FF0108FD
	v_mov_b32_e32 v45, v252                                    // 00000000C530: 7E5A03FC
	v_mov_b32_e32 v46, v253                                    // 00000000C534: 7E5C03FD
	v_cndmask_b32_e64 v252, v45, v41, s[42:43]                 // 00000000C538: D10000FC 00AA532D
	v_cndmask_b32_e64 v254, v45, v42, s[78:79]                 // 00000000C540: D10000FE 013A552D
	v_cndmask_b32_e64 v253, v46, v43, s[42:43]                 // 00000000C548: D10000FD 00AA572E
	v_cndmask_b32_e64 v255, v46, v44, s[78:79]                 // 00000000C550: D10000FF 013A592E
	buffer_load_dword v72, v70, s[36:39], 0 offen              // 00000000C558: E0501000 80094846
	v_mul_f32_e32 v128, v54, v128                              // 00000000C560: 0B010136
	v_mul_f32_e32 v129, v54, v129                              // 00000000C564: 0B030336
	v_mul_f32_e32 v130, v54, v130                              // 00000000C568: 0B050536
	v_mul_f32_e32 v131, v54, v131                              // 00000000C56C: 0B070736
	v_mul_f32_e32 v132, v54, v132                              // 00000000C570: 0B090936
	v_mul_f32_e32 v133, v54, v133                              // 00000000C574: 0B0B0B36
	v_mul_f32_e32 v134, v54, v134                              // 00000000C578: 0B0D0D36
	v_mul_f32_e32 v135, v54, v135                              // 00000000C57C: 0B0F0F36
	v_mul_f32_e32 v136, v54, v136                              // 00000000C580: 0B111136
	v_mul_f32_e32 v137, v54, v137                              // 00000000C584: 0B131336
	v_mul_f32_e32 v138, v54, v138                              // 00000000C588: 0B151536
	v_mul_f32_e32 v139, v54, v139                              // 00000000C58C: 0B171736
	v_mul_f32_e32 v140, v54, v140                              // 00000000C590: 0B191936
	v_mul_f32_e32 v141, v54, v141                              // 00000000C594: 0B1B1B36
	v_mul_f32_e32 v142, v54, v142                              // 00000000C598: 0B1D1D36
	v_mul_f32_e32 v143, v54, v143                              // 00000000C59C: 0B1F1F36
	buffer_load_dwordx4 a[16:19], v27, s[16:19], 0 offen       // 00000000C5A0: E05C1000 8084101B
	v_mul_f32_dpp v128, v248, v128 quad_perm:[0,0,0,0] row_mask:0xf bank_mask:0xf// 00000000C5A8: 0B0100FA FF0000F8
	v_mul_f32_dpp v129, v248, v129 quad_perm:[1,1,1,1] row_mask:0xf bank_mask:0xf// 00000000C5B0: 0B0302FA FF0055F8
	v_mul_f32_dpp v130, v248, v130 quad_perm:[2,2,2,2] row_mask:0xf bank_mask:0xf// 00000000C5B8: 0B0504FA FF00AAF8
	v_mul_f32_dpp v131, v248, v131 quad_perm:[3,3,3,3] row_mask:0xf bank_mask:0xf// 00000000C5C0: 0B0706FA FF00FFF8
	v_mul_f32_dpp v132, v249, v132 quad_perm:[0,0,0,0] row_mask:0xf bank_mask:0xf// 00000000C5C8: 0B0908FA FF0000F9
	v_mul_f32_dpp v133, v249, v133 quad_perm:[1,1,1,1] row_mask:0xf bank_mask:0xf// 00000000C5D0: 0B0B0AFA FF0055F9
	v_mul_f32_dpp v134, v249, v134 quad_perm:[2,2,2,2] row_mask:0xf bank_mask:0xf// 00000000C5D8: 0B0D0CFA FF00AAF9
	v_mul_f32_dpp v135, v249, v135 quad_perm:[3,3,3,3] row_mask:0xf bank_mask:0xf// 00000000C5E0: 0B0F0EFA FF00FFF9
	v_mul_f32_dpp v136, v250, v136 quad_perm:[0,0,0,0] row_mask:0xf bank_mask:0xf// 00000000C5E8: 0B1110FA FF0000FA
	v_mul_f32_dpp v137, v250, v137 quad_perm:[1,1,1,1] row_mask:0xf bank_mask:0xf// 00000000C5F0: 0B1312FA FF0055FA
	v_mul_f32_dpp v138, v250, v138 quad_perm:[2,2,2,2] row_mask:0xf bank_mask:0xf// 00000000C5F8: 0B1514FA FF00AAFA
	v_mul_f32_dpp v139, v250, v139 quad_perm:[3,3,3,3] row_mask:0xf bank_mask:0xf// 00000000C600: 0B1716FA FF00FFFA
	v_mul_f32_dpp v140, v251, v140 quad_perm:[0,0,0,0] row_mask:0xf bank_mask:0xf// 00000000C608: 0B1918FA FF0000FB
	v_mul_f32_dpp v141, v251, v141 quad_perm:[1,1,1,1] row_mask:0xf bank_mask:0xf// 00000000C610: 0B1B1AFA FF0055FB
	v_mul_f32_dpp v142, v251, v142 quad_perm:[2,2,2,2] row_mask:0xf bank_mask:0xf// 00000000C618: 0B1D1CFA FF00AAFB
	v_mul_f32_dpp v143, v251, v143 quad_perm:[3,3,3,3] row_mask:0xf bank_mask:0xf// 00000000C620: 0B1F1EFA FF00FFFB
	buffer_load_dwordx4 a[20:23], v27, s[16:19], 0 offen offset:1024// 00000000C628: E05C1400 8084141B
	s_cmp_le_i32 s90, s89                                      // 00000000C630: BF05595A
	s_cbranch_scc1 label_2981                                  // 00000000C634: BF850073
	v_mov_b32_e32 v69, 0xff800000                              // 00000000C638: 7E8A02FF FF800000
	s_mov_b32 s60, s90                                         // 00000000C640: BEBC005A
	s_add_u32 s61, s89, 0xff                                   // 00000000C644: 803DFF59 000000FF
	v_mov_b32_e32 v41, s61                                     // 00000000C64C: 7E52023D
	v_lshrrev_b32_e32 v240, 4, v0                              // 00000000C650: 21E00084
	v_mul_i32_i24_e32 v240, 4, v240                            // 00000000C654: 0DE1E084
	v_add_u32_e32 v240, s60, v240                              // 00000000C658: 69E1E03C
	v_and_b32_e32 v42, 15, v0                                  // 00000000C65C: 2654008F
	v_lshrrev_b32_e32 v42, 3, v42                              // 00000000C660: 20545483
	s_mov_b32 s61, 0                                           // 00000000C664: BEBD0080
	s_mul_i32 s60, 16, s7                                      // 00000000C668: 923C0790
	v_add_u32_e32 v42, s61, v42                                // 00000000C66C: 6854543D
	v_sub_u32_e32 v240, v240, v42                              // 00000000C670: 6BE055F0
	v_add_u32_e32 v240, s60, v240                              // 00000000C674: 69E1E03C
	v_add_u32_e32 v241, 1, v240                                // 00000000C678: 69E3E081
	v_add_u32_e32 v242, 2, v240                                // 00000000C67C: 69E5E082
	v_add_u32_e32 v243, 3, v240                                // 00000000C680: 69E7E083
	v_cmp_le_u32_e64 s[40:41], v240, v41                       // 00000000C684: D0CB0028 000253F0
	v_add_u32_e32 v240, 64, v240                               // 00000000C68C: 69E1E0C0
	s_nop 0                                                    // 00000000C690: BF800000
	v_cndmask_b32_e64 v128, v69, v128, s[40:41]                // 00000000C694: D1000080 00A30145
	v_cmp_le_u32_e64 s[40:41], v241, v41                       // 00000000C69C: D0CB0028 000253F1
	v_add_u32_e32 v241, 64, v241                               // 00000000C6A4: 69E3E2C0
	s_nop 0                                                    // 00000000C6A8: BF800000
	v_cndmask_b32_e64 v129, v69, v129, s[40:41]                // 00000000C6AC: D1000081 00A30345
	v_cmp_le_u32_e64 s[40:41], v242, v41                       // 00000000C6B4: D0CB0028 000253F2
	v_add_u32_e32 v242, 64, v242                               // 00000000C6BC: 69E5E4C0
	s_nop 0                                                    // 00000000C6C0: BF800000
	v_cndmask_b32_e64 v130, v69, v130, s[40:41]                // 00000000C6C4: D1000082 00A30545
	v_cmp_le_u32_e64 s[40:41], v243, v41                       // 00000000C6CC: D0CB0028 000253F3
	v_add_u32_e32 v243, 64, v243                               // 00000000C6D4: 69E7E6C0
	s_nop 0                                                    // 00000000C6D8: BF800000
	v_cndmask_b32_e64 v131, v69, v131, s[40:41]                // 00000000C6DC: D1000083 00A30745
	v_cmp_le_u32_e64 s[40:41], v240, v41                       // 00000000C6E4: D0CB0028 000253F0
	v_add_u32_e32 v240, 64, v240                               // 00000000C6EC: 69E1E0C0
	s_nop 0                                                    // 00000000C6F0: BF800000
	v_cndmask_b32_e64 v132, v69, v132, s[40:41]                // 00000000C6F4: D1000084 00A30945
	v_cmp_le_u32_e64 s[40:41], v241, v41                       // 00000000C6FC: D0CB0028 000253F1
	v_add_u32_e32 v241, 64, v241                               // 00000000C704: 69E3E2C0
	s_nop 0                                                    // 00000000C708: BF800000
	v_cndmask_b32_e64 v133, v69, v133, s[40:41]                // 00000000C70C: D1000085 00A30B45
	v_cmp_le_u32_e64 s[40:41], v242, v41                       // 00000000C714: D0CB0028 000253F2
	v_add_u32_e32 v242, 64, v242                               // 00000000C71C: 69E5E4C0
	s_nop 0                                                    // 00000000C720: BF800000
	v_cndmask_b32_e64 v134, v69, v134, s[40:41]                // 00000000C724: D1000086 00A30D45
	v_cmp_le_u32_e64 s[40:41], v243, v41                       // 00000000C72C: D0CB0028 000253F3
	v_add_u32_e32 v243, 64, v243                               // 00000000C734: 69E7E6C0
	s_nop 0                                                    // 00000000C738: BF800000
	v_cndmask_b32_e64 v135, v69, v135, s[40:41]                // 00000000C73C: D1000087 00A30F45
	v_cmp_le_u32_e64 s[40:41], v240, v41                       // 00000000C744: D0CB0028 000253F0
	v_add_u32_e32 v240, 64, v240                               // 00000000C74C: 69E1E0C0
	s_nop 0                                                    // 00000000C750: BF800000
	v_cndmask_b32_e64 v136, v69, v136, s[40:41]                // 00000000C754: D1000088 00A31145
	v_cmp_le_u32_e64 s[40:41], v241, v41                       // 00000000C75C: D0CB0028 000253F1
	v_add_u32_e32 v241, 64, v241                               // 00000000C764: 69E3E2C0
	s_nop 0                                                    // 00000000C768: BF800000
	v_cndmask_b32_e64 v137, v69, v137, s[40:41]                // 00000000C76C: D1000089 00A31345
	v_cmp_le_u32_e64 s[40:41], v242, v41                       // 00000000C774: D0CB0028 000253F2
	v_add_u32_e32 v242, 64, v242                               // 00000000C77C: 69E5E4C0
	s_nop 0                                                    // 00000000C780: BF800000
	v_cndmask_b32_e64 v138, v69, v138, s[40:41]                // 00000000C784: D100008A 00A31545
	v_cmp_le_u32_e64 s[40:41], v243, v41                       // 00000000C78C: D0CB0028 000253F3
	v_add_u32_e32 v243, 64, v243                               // 00000000C794: 69E7E6C0
	s_nop 0                                                    // 00000000C798: BF800000
	v_cndmask_b32_e64 v139, v69, v139, s[40:41]                // 00000000C79C: D100008B 00A31745
	v_cmp_le_u32_e64 s[40:41], v240, v41                       // 00000000C7A4: D0CB0028 000253F0
	v_add_u32_e32 v240, 64, v240                               // 00000000C7AC: 69E1E0C0
	s_nop 0                                                    // 00000000C7B0: BF800000
	v_cndmask_b32_e64 v140, v69, v140, s[40:41]                // 00000000C7B4: D100008C 00A31945
	v_cmp_le_u32_e64 s[40:41], v241, v41                       // 00000000C7BC: D0CB0028 000253F1
	v_add_u32_e32 v241, 64, v241                               // 00000000C7C4: 69E3E2C0
	s_nop 0                                                    // 00000000C7C8: BF800000
	v_cndmask_b32_e64 v141, v69, v141, s[40:41]                // 00000000C7CC: D100008D 00A31B45
	v_cmp_le_u32_e64 s[40:41], v242, v41                       // 00000000C7D4: D0CB0028 000253F2
	v_add_u32_e32 v242, 64, v242                               // 00000000C7DC: 69E5E4C0
	s_nop 0                                                    // 00000000C7E0: BF800000
	v_cndmask_b32_e64 v142, v69, v142, s[40:41]                // 00000000C7E4: D100008E 00A31D45
	v_cmp_le_u32_e64 s[40:41], v243, v41                       // 00000000C7EC: D0CB0028 000253F3
	v_add_u32_e32 v243, 64, v243                               // 00000000C7F4: 69E7E6C0
	s_nop 0                                                    // 00000000C7F8: BF800000
	v_cndmask_b32_e64 v143, v69, v143, s[40:41]                // 00000000C7FC: D100008F 00A31F45

000000000000c804 <label_2981>:
	v_mov_b32_e32 v62, v128                                    // 00000000C804: 7E7C0380
	v_max3_f32 v62, v128, v129, v62                            // 00000000C808: D1D3003E 04FB0380
	v_max3_f32 v62, v130, v131, v62                            // 00000000C810: D1D3003E 04FB0782
	v_max3_f32 v62, v132, v133, v62                            // 00000000C818: D1D3003E 04FB0B84
	v_max3_f32 v62, v134, v135, v62                            // 00000000C820: D1D3003E 04FB0F86
	v_max3_f32 v62, v136, v137, v62                            // 00000000C828: D1D3003E 04FB1388
	v_max3_f32 v62, v138, v139, v62                            // 00000000C830: D1D3003E 04FB178A
	v_max3_f32 v62, v140, v141, v62                            // 00000000C838: D1D3003E 04FB1B8C
	v_max3_f32 v62, v142, v143, v62                            // 00000000C840: D1D3003E 04FB1F8E
	ds_write_b32 v11, v62 offset:16896                         // 00000000C848: D81A4200 00003E0B
	buffer_load_dwordx4 a[24:27], v28, s[16:19], 0 offen       // 00000000C850: E05C1000 8084181C
	v_mul_u32_u24_dpp v41, v19, v68 row_newbcast:1 row_mask:0xf bank_mask:0xf// 00000000C858: 105288FA FF015113
	v_mul_u32_u24_dpp v42, v19, v68 row_newbcast:5 row_mask:0xf bank_mask:0xf// 00000000C860: 105488FA FF015513
	v_mul_u32_u24_dpp v43, v19, v68 row_newbcast:9 row_mask:0xf bank_mask:0xf// 00000000C868: 105688FA FF015913
	v_mul_u32_u24_dpp v44, v19, v68 row_newbcast:13 row_mask:0xf bank_mask:0xf// 00000000C870: 105888FA FF015D13
	v_add_u32_e32 v33, v41, v7                                 // 00000000C878: 68420F29
	v_add_u32_e32 v34, v42, v7                                 // 00000000C87C: 68440F2A
	v_add_u32_e32 v35, v43, v7                                 // 00000000C880: 68460F2B
	v_add_u32_e32 v36, v44, v7                                 // 00000000C884: 68480F2C
	v_mul_f32_e32 v224, v63, v224                              // 00000000C888: 0BC1C13F
	v_mul_f32_e32 v225, v63, v225                              // 00000000C88C: 0BC3C33F
	v_mul_f32_e32 v226, v63, v226                              // 00000000C890: 0BC5C53F
	v_mul_f32_e32 v227, v63, v227                              // 00000000C894: 0BC7C73F
	v_mul_f32_e32 v228, v63, v228                              // 00000000C898: 0BC9C93F
	v_mul_f32_e32 v229, v63, v229                              // 00000000C89C: 0BCBCB3F
	v_mul_f32_e32 v230, v63, v230                              // 00000000C8A0: 0BCDCD3F
	v_mul_f32_e32 v231, v63, v231                              // 00000000C8A4: 0BCFCF3F
	s_waitcnt lgkmcnt(0)                                       // 00000000C8A8: BF8CC07F
	s_barrier                                                  // 00000000C8AC: BF8A0000
	ds_read_b32 v80, v10 offset:16896                          // 00000000C8B0: D86C4200 5000000A
	ds_read_b32 v81, v10 offset:16960                          // 00000000C8B8: D86C4240 5100000A
	ds_read_b32 v82, v10 offset:17024                          // 00000000C8C0: D86C4280 5200000A
	ds_read_b32 v83, v10 offset:17088                          // 00000000C8C8: D86C42C0 5300000A
	ds_read_b32 v84, v10 offset:17152                          // 00000000C8D0: D86C4300 5400000A
	ds_read_b32 v85, v10 offset:17216                          // 00000000C8D8: D86C4340 5500000A
	ds_read_b32 v86, v10 offset:17280                          // 00000000C8E0: D86C4380 5600000A
	ds_read_b32 v87, v10 offset:17344                          // 00000000C8E8: D86C43C0 5700000A
	ds_read_b32 v88, v10 offset:17408                          // 00000000C8F0: D86C4400 5800000A
	ds_read_b32 v89, v10 offset:17472                          // 00000000C8F8: D86C4440 5900000A
	ds_read_b32 v90, v10 offset:17536                          // 00000000C900: D86C4480 5A00000A
	ds_read_b32 v91, v10 offset:17600                          // 00000000C908: D86C44C0 5B00000A
	ds_read_b32 v92, v10 offset:17664                          // 00000000C910: D86C4500 5C00000A
	ds_read_b32 v93, v10 offset:17728                          // 00000000C918: D86C4540 5D00000A
	ds_read_b32 v94, v10 offset:17792                          // 00000000C920: D86C4580 5E00000A
	ds_read_b32 v95, v10 offset:17856                          // 00000000C928: D86C45C0 5F00000A
	buffer_load_dwordx4 a[28:31], v28, s[16:19], 0 offen offset:1024// 00000000C930: E05C1400 80841C1C
	v_mul_f32_e32 v192, v58, v192                              // 00000000C938: 0B81813A
	v_mul_f32_e32 v193, v58, v193                              // 00000000C93C: 0B83833A
	v_mul_f32_e32 v194, v58, v194                              // 00000000C940: 0B85853A
	v_mul_f32_e32 v195, v58, v195                              // 00000000C944: 0B87873A
	v_mul_f32_e32 v196, v58, v196                              // 00000000C948: 0B89893A
	v_mul_f32_e32 v197, v58, v197                              // 00000000C94C: 0B8B8B3A
	v_mul_f32_e32 v198, v58, v198                              // 00000000C950: 0B8D8D3A
	v_mul_f32_e32 v199, v58, v199                              // 00000000C954: 0B8F8F3A
	s_waitcnt lgkmcnt(0)                                       // 00000000C958: BF8CC07F
	v_max3_f32 v62, v80, v81, v62                              // 00000000C95C: D1D3003E 04FAA350
	v_max3_f32 v62, v82, v83, v62                              // 00000000C964: D1D3003E 04FAA752
	v_max3_f32 v62, v84, v85, v62                              // 00000000C96C: D1D3003E 04FAAB54
	v_max3_f32 v62, v86, v87, v62                              // 00000000C974: D1D3003E 04FAAF56
	v_max3_f32 v62, v88, v89, v62                              // 00000000C97C: D1D3003E 04FAB358
	v_max3_f32 v62, v90, v91, v62                              // 00000000C984: D1D3003E 04FAB75A
	v_max3_f32 v62, v92, v93, v62                              // 00000000C98C: D1D3003E 04FABB5C
	v_max3_f32 v62, v94, v95, v62                              // 00000000C994: D1D3003E 04FABF5E
	buffer_load_dwordx4 a[64:67], v33, s[20:23], 0 offen       // 00000000C99C: E05C1000 80854021
	v_mov_b32_e32 v41, 0xff800000                              // 00000000C9A4: 7E5202FF FF800000
	v_cmp_eq_u32_e64 s[40:41], v41, v14                        // 00000000C9AC: D0CA0028 00021D29
	s_nop 1                                                    // 00000000C9B4: BF800001
	v_max_f32_e32 v18, v62, v14                                // 00000000C9B8: 16241D3E
	v_mul_f32_e32 v67, s64, v18                                // 00000000C9BC: 0A862440
	v_fma_f32 v128, v128, s64, -v67                            // 00000000C9C0: D1CB0080 850C8180
	v_fma_f32 v129, v129, s64, -v67                            // 00000000C9C8: D1CB0081 850C8181
	v_fma_f32 v130, v130, s64, -v67                            // 00000000C9D0: D1CB0082 850C8182
	v_fma_f32 v131, v131, s64, -v67                            // 00000000C9D8: D1CB0083 850C8183
	v_fma_f32 v132, v132, s64, -v67                            // 00000000C9E0: D1CB0084 850C8184
	v_fma_f32 v133, v133, s64, -v67                            // 00000000C9E8: D1CB0085 850C8185
	v_fma_f32 v134, v134, s64, -v67                            // 00000000C9F0: D1CB0086 850C8186
	v_fma_f32 v135, v135, s64, -v67                            // 00000000C9F8: D1CB0087 850C8187
	v_fma_f32 v136, v136, s64, -v67                            // 00000000CA00: D1CB0088 850C8188
	v_fma_f32 v137, v137, s64, -v67                            // 00000000CA08: D1CB0089 850C8189
	v_fma_f32 v138, v138, s64, -v67                            // 00000000CA10: D1CB008A 850C818A
	v_fma_f32 v139, v139, s64, -v67                            // 00000000CA18: D1CB008B 850C818B
	v_fma_f32 v140, v140, s64, -v67                            // 00000000CA20: D1CB008C 850C818C
	v_fma_f32 v141, v141, s64, -v67                            // 00000000CA28: D1CB008D 850C818D
	v_fma_f32 v142, v142, s64, -v67                            // 00000000CA30: D1CB008E 850C818E
	v_fma_f32 v143, v143, s64, -v67                            // 00000000CA38: D1CB008F 850C818F
	buffer_load_dwordx4 a[68:71], v34, s[20:23], 0 offen       // 00000000CA40: E05C1000 80854422
	v_exp_f32_e32 v128, v128                                   // 00000000CA48: 7F004180
	v_exp_f32_e32 v129, v129                                   // 00000000CA4C: 7F024181
	v_exp_f32_e32 v130, v130                                   // 00000000CA50: 7F044182
	v_exp_f32_e32 v131, v131                                   // 00000000CA54: 7F064183
	v_exp_f32_e32 v132, v132                                   // 00000000CA58: 7F084184
	v_exp_f32_e32 v133, v133                                   // 00000000CA5C: 7F0A4185
	v_exp_f32_e32 v134, v134                                   // 00000000CA60: 7F0C4186
	v_exp_f32_e32 v135, v135                                   // 00000000CA64: 7F0E4187
	v_exp_f32_e32 v136, v136                                   // 00000000CA68: 7F104188
	v_exp_f32_e32 v137, v137                                   // 00000000CA6C: 7F124189
	v_exp_f32_e32 v138, v138                                   // 00000000CA70: 7F14418A
	v_exp_f32_e32 v139, v139                                   // 00000000CA74: 7F16418B
	v_exp_f32_e32 v140, v140                                   // 00000000CA78: 7F18418C
	v_exp_f32_e32 v141, v141                                   // 00000000CA7C: 7F1A418D
	v_exp_f32_e32 v142, v142                                   // 00000000CA80: 7F1C418E
	v_exp_f32_e32 v143, v143                                   // 00000000CA84: 7F1E418F
	buffer_load_dwordx4 a[72:75], v35, s[20:23], 0 offen       // 00000000CA88: E05C1000 80854823
	v_mul_f32_dpp v240, v252, v128 quad_perm:[0,0,0,0] row_mask:0xf bank_mask:0xf// 00000000CA90: 0BE100FA FF0000FC
	v_mul_f32_dpp v241, v252, v129 quad_perm:[1,1,1,1] row_mask:0xf bank_mask:0xf// 00000000CA98: 0BE302FA FF0055FC
	v_mul_f32_dpp v242, v252, v130 quad_perm:[2,2,2,2] row_mask:0xf bank_mask:0xf// 00000000CAA0: 0BE504FA FF00AAFC
	v_mul_f32_dpp v243, v252, v131 quad_perm:[3,3,3,3] row_mask:0xf bank_mask:0xf// 00000000CAA8: 0BE706FA FF00FFFC
	v_mul_f32_dpp v244, v253, v132 quad_perm:[0,0,0,0] row_mask:0xf bank_mask:0xf// 00000000CAB0: 0BE908FA FF0000FD
	v_mul_f32_dpp v245, v253, v133 quad_perm:[1,1,1,1] row_mask:0xf bank_mask:0xf// 00000000CAB8: 0BEB0AFA FF0055FD
	v_mul_f32_dpp v246, v253, v134 quad_perm:[2,2,2,2] row_mask:0xf bank_mask:0xf// 00000000CAC0: 0BED0CFA FF00AAFD
	v_mul_f32_dpp v247, v253, v135 quad_perm:[3,3,3,3] row_mask:0xf bank_mask:0xf// 00000000CAC8: 0BEF0EFA FF00FFFD
	v_mul_f32_dpp v248, v254, v136 quad_perm:[0,0,0,0] row_mask:0xf bank_mask:0xf// 00000000CAD0: 0BF110FA FF0000FE
	v_mul_f32_dpp v249, v254, v137 quad_perm:[1,1,1,1] row_mask:0xf bank_mask:0xf// 00000000CAD8: 0BF312FA FF0055FE
	v_mul_f32_dpp v250, v254, v138 quad_perm:[2,2,2,2] row_mask:0xf bank_mask:0xf// 00000000CAE0: 0BF514FA FF00AAFE
	v_mul_f32_dpp v251, v254, v139 quad_perm:[3,3,3,3] row_mask:0xf bank_mask:0xf// 00000000CAE8: 0BF716FA FF00FFFE
	v_mul_f32_dpp v252, v255, v140 quad_perm:[0,0,0,0] row_mask:0xf bank_mask:0xf// 00000000CAF0: 0BF918FA FF0000FF
	v_mul_f32_dpp v253, v255, v141 quad_perm:[1,1,1,1] row_mask:0xf bank_mask:0xf// 00000000CAF8: 0BFB1AFA FF0055FF
	v_mul_f32_dpp v254, v255, v142 quad_perm:[2,2,2,2] row_mask:0xf bank_mask:0xf// 00000000CB00: 0BFD1CFA FF00AAFF
	v_mul_f32_dpp v255, v255, v143 quad_perm:[3,3,3,3] row_mask:0xf bank_mask:0xf// 00000000CB08: 0BFF1EFA FF00FFFF
	v_mov_b32_e32 v62, 0x358637bd                              // 00000000CB10: 7E7C02FF 358637BD
	v_max3_f32 v62, |v240|, |v241|, v62                        // 00000000CB18: D1D3033E 04FBE3F0
	v_max3_f32 v62, |v242|, |v243|, v62                        // 00000000CB20: D1D3033E 04FBE7F2
	v_max3_f32 v62, |v244|, |v245|, v62                        // 00000000CB28: D1D3033E 04FBEBF4
	v_max3_f32 v62, |v246|, |v247|, v62                        // 00000000CB30: D1D3033E 04FBEFF6
	v_max3_f32 v62, |v248|, |v249|, v62                        // 00000000CB38: D1D3033E 04FBF3F8
	v_max3_f32 v62, |v250|, |v251|, v62                        // 00000000CB40: D1D3033E 04FBF7FA
	v_max3_f32 v62, |v252|, |v253|, v62                        // 00000000CB48: D1D3033E 04FBFBFC
	v_max3_f32 v62, |v254|, |v255|, v62                        // 00000000CB50: D1D3033E 04FBFFFE
	buffer_load_dwordx4 a[76:79], v36, s[20:23], 0 offen       // 00000000CB58: E05C1000 80854C24
	ds_write_b32 v11, v62 offset:20992                         // 00000000CB60: D81A5200 00003E0B
	v_sub_f32_e32 v63, v14, v18                                // 00000000CB68: 047E250E
	v_cndmask_b32_e64 v63, v63, 0, s[40:41]                    // 00000000CB6C: D100003F 00A1013F
	v_mov_b32_e32 v14, v18                                     // 00000000CB74: 7E1C0312
	v_mul_f32_e32 v63, s64, v63                                // 00000000CB78: 0A7E7E40
	v_exp_f32_e32 v63, v63                                     // 00000000CB7C: 7E7E413F
	s_waitcnt lgkmcnt(0)                                       // 00000000CB80: BF8CC07F
	s_barrier                                                  // 00000000CB84: BF8A0000
	ds_read_b32 v80, v10 offset:20992                          // 00000000CB88: D86C5200 5000000A
	ds_read_b32 v81, v10 offset:21056                          // 00000000CB90: D86C5240 5100000A
	ds_read_b32 v82, v10 offset:21120                          // 00000000CB98: D86C5280 5200000A
	ds_read_b32 v83, v10 offset:21184                          // 00000000CBA0: D86C52C0 5300000A
	ds_read_b32 v84, v10 offset:21248                          // 00000000CBA8: D86C5300 5400000A
	ds_read_b32 v85, v10 offset:21312                          // 00000000CBB0: D86C5340 5500000A
	ds_read_b32 v86, v10 offset:21376                          // 00000000CBB8: D86C5380 5600000A
	ds_read_b32 v87, v10 offset:21440                          // 00000000CBC0: D86C53C0 5700000A
	ds_read_b32 v88, v10 offset:21504                          // 00000000CBC8: D86C5400 5800000A
	ds_read_b32 v89, v10 offset:21568                          // 00000000CBD0: D86C5440 5900000A
	ds_read_b32 v90, v10 offset:21632                          // 00000000CBD8: D86C5480 5A00000A
	ds_read_b32 v91, v10 offset:21696                          // 00000000CBE0: D86C54C0 5B00000A
	ds_read_b32 v92, v10 offset:21760                          // 00000000CBE8: D86C5500 5C00000A
	ds_read_b32 v93, v10 offset:21824                          // 00000000CBF0: D86C5540 5D00000A
	ds_read_b32 v94, v10 offset:21888                          // 00000000CBF8: D86C5580 5E00000A
	ds_read_b32 v95, v10 offset:21952                          // 00000000CC00: D86C55C0 5F00000A
	v_mul_f32_e32 v47, v63, v47                                // 00000000CC08: 0A5E5F3F
	v_mov_b32_e32 v18, v128                                    // 00000000CC0C: 7E240380
	v_add_f32_e32 v18, v129, v18                               // 00000000CC10: 02242581
	v_add_f32_e32 v18, v130, v18                               // 00000000CC14: 02242582
	v_add_f32_e32 v18, v131, v18                               // 00000000CC18: 02242583
	v_add_f32_e32 v18, v132, v18                               // 00000000CC1C: 02242584
	v_add_f32_e32 v18, v133, v18                               // 00000000CC20: 02242585
	v_add_f32_e32 v18, v134, v18                               // 00000000CC24: 02242586
	v_add_f32_e32 v18, v135, v18                               // 00000000CC28: 02242587
	v_add_f32_e32 v18, v136, v18                               // 00000000CC2C: 02242588
	v_add_f32_e32 v18, v137, v18                               // 00000000CC30: 02242589
	v_add_f32_e32 v18, v138, v18                               // 00000000CC34: 0224258A
	v_add_f32_e32 v18, v139, v18                               // 00000000CC38: 0224258B
	v_add_f32_e32 v18, v140, v18                               // 00000000CC3C: 0224258C
	v_add_f32_e32 v18, v141, v18                               // 00000000CC40: 0224258D
	v_add_f32_e32 v18, v142, v18                               // 00000000CC44: 0224258E
	v_add_f32_e32 v18, v143, v18                               // 00000000CC48: 0224258F
	v_add_f32_e32 v47, v18, v47                                // 00000000CC4C: 025E5F12
	s_waitcnt lgkmcnt(0)                                       // 00000000CC50: BF8CC07F
	v_max3_f32 v62, |v80|, |v81|, v62                          // 00000000CC54: D1D3033E 04FAA350
	v_max3_f32 v62, |v82|, |v83|, v62                          // 00000000CC5C: D1D3033E 04FAA752
	v_max3_f32 v62, |v84|, |v85|, v62                          // 00000000CC64: D1D3033E 04FAAB54
	v_max3_f32 v62, |v86|, |v87|, v62                          // 00000000CC6C: D1D3033E 04FAAF56
	v_max3_f32 v62, |v88|, |v89|, v62                          // 00000000CC74: D1D3033E 04FAB358
	v_max3_f32 v62, |v90|, |v91|, v62                          // 00000000CC7C: D1D3033E 04FAB75A
	v_max3_f32 v62, |v92|, |v93|, v62                          // 00000000CC84: D1D3033E 04FABB5C
	v_max3_f32 v62, |v94|, |v95|, v62                          // 00000000CC8C: D1D3033E 04FABF5E
	s_nop 2                                                    // 00000000CC94: BF800002
	v_rcp_f32_e32 v62, v62                                     // 00000000CC98: 7E7C453E
	s_nop 1                                                    // 00000000CC9C: BF800001
	v_mul_f32_e32 v62, 0x43e00000, v62                         // 00000000CCA0: 0A7C7CFF 43E00000
	v_mul_f32_e32 v128, v62, v240                              // 00000000CCA8: 0B01E13E
	v_mul_f32_e32 v129, v62, v241                              // 00000000CCAC: 0B03E33E
	v_mul_f32_e32 v130, v62, v242                              // 00000000CCB0: 0B05E53E
	v_mul_f32_e32 v131, v62, v243                              // 00000000CCB4: 0B07E73E
	v_mul_f32_e32 v132, v62, v244                              // 00000000CCB8: 0B09E93E
	v_mul_f32_e32 v133, v62, v245                              // 00000000CCBC: 0B0BEB3E
	v_mul_f32_e32 v134, v62, v246                              // 00000000CCC0: 0B0DED3E
	v_mul_f32_e32 v135, v62, v247                              // 00000000CCC4: 0B0FEF3E
	v_mul_f32_e32 v136, v62, v248                              // 00000000CCC8: 0B11F13E
	v_mul_f32_e32 v137, v62, v249                              // 00000000CCCC: 0B13F33E
	v_mul_f32_e32 v138, v62, v250                              // 00000000CCD0: 0B15F53E
	v_mul_f32_e32 v139, v62, v251                              // 00000000CCD4: 0B17F73E
	v_mul_f32_e32 v140, v62, v252                              // 00000000CCD8: 0B19F93E
	v_mul_f32_e32 v141, v62, v253                              // 00000000CCDC: 0B1BFB3E
	v_mul_f32_e32 v142, v62, v254                              // 00000000CCE0: 0B1DFD3E
	v_mul_f32_e32 v143, v62, v255                              // 00000000CCE4: 0B1FFF3E
	v_cvt_pk_fp8_f32 v128, v128, v129                          // 00000000CCE8: D2A20080 00030380
	v_cvt_pk_fp8_f32 v128, v130, v131 op_sel:[0,0,1]           // 00000000CCF0: D2A24080 00030782
	v_cvt_pk_fp8_f32 v129, v132, v133                          // 00000000CCF8: D2A20081 00030B84
	v_cvt_pk_fp8_f32 v129, v134, v135 op_sel:[0,0,1]           // 00000000CD00: D2A24081 00030F86
	v_cvt_pk_fp8_f32 v130, v136, v137                          // 00000000CD08: D2A20082 00031388
	v_cvt_pk_fp8_f32 v130, v138, v139 op_sel:[0,0,1]           // 00000000CD10: D2A24082 0003178A
	v_cvt_pk_fp8_f32 v131, v140, v141                          // 00000000CD18: D2A20083 00031B8C
	v_cvt_pk_fp8_f32 v131, v142, v143 op_sel:[0,0,1]           // 00000000CD20: D2A24083 00031F8E
	ds_write_b32 v13, v128 offset:25088                        // 00000000CD28: D81A6200 0000800D
	ds_write_b32 v13, v129 offset:26112                        // 00000000CD30: D81A6600 0000810D
	ds_write_b32 v13, v130 offset:27136                        // 00000000CD38: D81A6A00 0000820D
	ds_write_b32 v13, v131 offset:28160                        // 00000000CD40: D81A6E00 0000830D
	v_add_f32_e32 v224, v224, v192                             // 00000000CD48: 03C181E0
	v_add_f32_e32 v225, v225, v193                             // 00000000CD4C: 03C383E1
	v_add_f32_e32 v226, v226, v194                             // 00000000CD50: 03C585E2
	v_add_f32_e32 v227, v227, v195                             // 00000000CD54: 03C787E3
	v_add_f32_e32 v228, v228, v196                             // 00000000CD58: 03C989E4
	v_add_f32_e32 v229, v229, v197                             // 00000000CD5C: 03CB8BE5
	v_add_f32_e32 v230, v230, v198                             // 00000000CD60: 03CD8DE6
	v_add_f32_e32 v231, v231, v199                             // 00000000CD64: 03CF8FE7
	v_rcp_f32_e32 v58, v62                                     // 00000000CD68: 7E74453E
	s_waitcnt lgkmcnt(0)                                       // 00000000CD6C: BF8CC07F
	s_barrier                                                  // 00000000CD70: BF8A0000
	ds_read_b64 v[128:129], v12 offset:25088                   // 00000000CD74: D8EC6200 8000000C
	ds_read_b64 v[130:131], v12 offset:25216                   // 00000000CD7C: D8EC6280 8200000C
	ds_read_b64 v[132:133], v12 offset:26112                   // 00000000CD84: D8EC6600 8400000C
	ds_read_b64 v[134:135], v12 offset:26240                   // 00000000CD8C: D8EC6680 8600000C
	ds_read_b64 v[136:137], v12 offset:27136                   // 00000000CD94: D8EC6A00 8800000C
	ds_read_b64 v[138:139], v12 offset:27264                   // 00000000CD9C: D8EC6A80 8A00000C
	ds_read_b64 v[140:141], v12 offset:28160                   // 00000000CDA4: D8EC6E00 8C00000C
	ds_read_b64 v[142:143], v12 offset:28288                   // 00000000CDAC: D8EC6E80 8E00000C
	v_mov_b32_dpp v41, v53 row_shr:4 row_mask:0xf bank_mask:0xf// 00000000CDB4: 7E5202FA FF011435
	v_mov_b32_dpp v42, v53 row_shl:4 row_mask:0xf bank_mask:0xf// 00000000CDBC: 7E5402FA FF010435
	v_cndmask_b32_e64 v248, v53, v41, s[44:45]                 // 00000000CDC4: D10000F8 00B25335
	v_cndmask_b32_e64 v249, v42, v53, s[44:45]                 // 00000000CDCC: D10000F9 00B26B2A
	v_mov_b32_dpp v41, v248 row_shr:8 row_mask:0xf bank_mask:0xf// 00000000CDD4: 7E5202FA FF0118F8
	v_mov_b32_dpp v42, v248 row_shl:8 row_mask:0xf bank_mask:0xf// 00000000CDDC: 7E5402FA FF0108F8
	v_mov_b32_dpp v43, v249 row_shr:8 row_mask:0xf bank_mask:0xf// 00000000CDE4: 7E5602FA FF0118F9
	v_mov_b32_dpp v44, v249 row_shl:8 row_mask:0xf bank_mask:0xf// 00000000CDEC: 7E5802FA FF0108F9
	v_mov_b32_e32 v45, v248                                    // 00000000CDF4: 7E5A03F8
	v_mov_b32_e32 v46, v249                                    // 00000000CDF8: 7E5C03F9
	v_cndmask_b32_e64 v248, v45, v41, s[42:43]                 // 00000000CDFC: D10000F8 00AA532D
	v_cndmask_b32_e64 v250, v45, v42, s[78:79]                 // 00000000CE04: D10000FA 013A552D
	v_cndmask_b32_e64 v249, v46, v43, s[42:43]                 // 00000000CE0C: D10000F9 00AA572E
	v_cndmask_b32_e64 v251, v46, v44, s[78:79]                 // 00000000CE14: D10000FB 013A592E
	v_mov_b32_dpp v41, v73 row_shr:4 row_mask:0xf bank_mask:0xf// 00000000CE1C: 7E5202FA FF011449
	v_mov_b32_dpp v42, v73 row_shl:4 row_mask:0xf bank_mask:0xf// 00000000CE24: 7E5402FA FF010449
	v_cndmask_b32_e64 v252, v73, v41, s[44:45]                 // 00000000CE2C: D10000FC 00B25349
	v_cndmask_b32_e64 v253, v42, v73, s[44:45]                 // 00000000CE34: D10000FD 00B2932A
	v_mov_b32_dpp v41, v252 row_shr:8 row_mask:0xf bank_mask:0xf// 00000000CE3C: 7E5202FA FF0118FC
	v_mov_b32_dpp v42, v252 row_shl:8 row_mask:0xf bank_mask:0xf// 00000000CE44: 7E5402FA FF0108FC
	v_mov_b32_dpp v43, v253 row_shr:8 row_mask:0xf bank_mask:0xf// 00000000CE4C: 7E5602FA FF0118FD
	v_mov_b32_dpp v44, v253 row_shl:8 row_mask:0xf bank_mask:0xf// 00000000CE54: 7E5802FA FF0108FD
	v_mov_b32_e32 v45, v252                                    // 00000000CE5C: 7E5A03FC
	v_mov_b32_e32 v46, v253                                    // 00000000CE60: 7E5C03FD
	v_cndmask_b32_e64 v252, v45, v41, s[42:43]                 // 00000000CE64: D10000FC 00AA532D
	v_cndmask_b32_e64 v254, v45, v42, s[78:79]                 // 00000000CE6C: D10000FE 013A552D
	v_cndmask_b32_e64 v253, v46, v43, s[42:43]                 // 00000000CE74: D10000FD 00AA572E
	v_cndmask_b32_e64 v255, v46, v44, s[78:79]                 // 00000000CE7C: D10000FF 013A592E
	v_mul_f32_e32 v144, v55, v144                              // 00000000CE84: 0B212137
	v_mul_f32_e32 v145, v55, v145                              // 00000000CE88: 0B232337
	v_mul_f32_e32 v146, v55, v146                              // 00000000CE8C: 0B252537
	v_mul_f32_e32 v147, v55, v147                              // 00000000CE90: 0B272737
	v_mul_f32_e32 v148, v55, v148                              // 00000000CE94: 0B292937
	v_mul_f32_e32 v149, v55, v149                              // 00000000CE98: 0B2B2B37
	v_mul_f32_e32 v150, v55, v150                              // 00000000CE9C: 0B2D2D37
	v_mul_f32_e32 v151, v55, v151                              // 00000000CEA0: 0B2F2F37
	v_mul_f32_e32 v152, v55, v152                              // 00000000CEA4: 0B313137
	v_mul_f32_e32 v153, v55, v153                              // 00000000CEA8: 0B333337
	v_mul_f32_e32 v154, v55, v154                              // 00000000CEAC: 0B353537
	v_mul_f32_e32 v155, v55, v155                              // 00000000CEB0: 0B373737
	v_mul_f32_e32 v156, v55, v156                              // 00000000CEB4: 0B393937
	v_mul_f32_e32 v157, v55, v157                              // 00000000CEB8: 0B3B3B37
	v_mul_f32_e32 v158, v55, v158                              // 00000000CEBC: 0B3D3D37
	v_mul_f32_e32 v159, v55, v159                              // 00000000CEC0: 0B3F3F37
	v_mul_f32_dpp v144, v248, v144 quad_perm:[0,0,0,0] row_mask:0xf bank_mask:0xf// 00000000CEC4: 0B2120FA FF0000F8
	v_mul_f32_dpp v145, v248, v145 quad_perm:[1,1,1,1] row_mask:0xf bank_mask:0xf// 00000000CECC: 0B2322FA FF0055F8
	v_mul_f32_dpp v146, v248, v146 quad_perm:[2,2,2,2] row_mask:0xf bank_mask:0xf// 00000000CED4: 0B2524FA FF00AAF8
	v_mul_f32_dpp v147, v248, v147 quad_perm:[3,3,3,3] row_mask:0xf bank_mask:0xf// 00000000CEDC: 0B2726FA FF00FFF8
	v_mul_f32_dpp v148, v249, v148 quad_perm:[0,0,0,0] row_mask:0xf bank_mask:0xf// 00000000CEE4: 0B2928FA FF0000F9
	v_mul_f32_dpp v149, v249, v149 quad_perm:[1,1,1,1] row_mask:0xf bank_mask:0xf// 00000000CEEC: 0B2B2AFA FF0055F9
	v_mul_f32_dpp v150, v249, v150 quad_perm:[2,2,2,2] row_mask:0xf bank_mask:0xf// 00000000CEF4: 0B2D2CFA FF00AAF9
	v_mul_f32_dpp v151, v249, v151 quad_perm:[3,3,3,3] row_mask:0xf bank_mask:0xf// 00000000CEFC: 0B2F2EFA FF00FFF9
	v_mul_f32_dpp v152, v250, v152 quad_perm:[0,0,0,0] row_mask:0xf bank_mask:0xf// 00000000CF04: 0B3130FA FF0000FA
	v_mul_f32_dpp v153, v250, v153 quad_perm:[1,1,1,1] row_mask:0xf bank_mask:0xf// 00000000CF0C: 0B3332FA FF0055FA
	v_mul_f32_dpp v154, v250, v154 quad_perm:[2,2,2,2] row_mask:0xf bank_mask:0xf// 00000000CF14: 0B3534FA FF00AAFA
	v_mul_f32_dpp v155, v250, v155 quad_perm:[3,3,3,3] row_mask:0xf bank_mask:0xf// 00000000CF1C: 0B3736FA FF00FFFA
	v_mul_f32_dpp v156, v251, v156 quad_perm:[0,0,0,0] row_mask:0xf bank_mask:0xf// 00000000CF24: 0B3938FA FF0000FB
	v_mul_f32_dpp v157, v251, v157 quad_perm:[1,1,1,1] row_mask:0xf bank_mask:0xf// 00000000CF2C: 0B3B3AFA FF0055FB
	v_mul_f32_dpp v158, v251, v158 quad_perm:[2,2,2,2] row_mask:0xf bank_mask:0xf// 00000000CF34: 0B3D3CFA FF00AAFB
	v_mul_f32_dpp v159, v251, v159 quad_perm:[3,3,3,3] row_mask:0xf bank_mask:0xf// 00000000CF3C: 0B3F3EFA FF00FFFB
	s_cmp_le_i32 s90, s89                                      // 00000000CF44: BF05595A
	s_cbranch_scc1 label_2BC6                                  // 00000000CF48: BF850073
	v_mov_b32_e32 v69, 0xff800000                              // 00000000CF4C: 7E8A02FF FF800000
	s_mov_b32 s60, s90                                         // 00000000CF54: BEBC005A
	s_add_u32 s61, s89, 0xff                                   // 00000000CF58: 803DFF59 000000FF
	v_mov_b32_e32 v41, s61                                     // 00000000CF60: 7E52023D
	v_lshrrev_b32_e32 v240, 4, v0                              // 00000000CF64: 21E00084
	v_mul_i32_i24_e32 v240, 4, v240                            // 00000000CF68: 0DE1E084
	v_add_u32_e32 v240, s60, v240                              // 00000000CF6C: 69E1E03C
	v_and_b32_e32 v42, 15, v0                                  // 00000000CF70: 2654008F
	v_lshrrev_b32_e32 v42, 3, v42                              // 00000000CF74: 20545483
	s_mov_b32 s61, 2                                           // 00000000CF78: BEBD0082
	s_mul_i32 s60, 16, s7                                      // 00000000CF7C: 923C0790
	v_add_u32_e32 v42, s61, v42                                // 00000000CF80: 6854543D
	v_sub_u32_e32 v240, v240, v42                              // 00000000CF84: 6BE055F0
	v_add_u32_e32 v240, s60, v240                              // 00000000CF88: 69E1E03C
	v_add_u32_e32 v241, 1, v240                                // 00000000CF8C: 69E3E081
	v_add_u32_e32 v242, 2, v240                                // 00000000CF90: 69E5E082
	v_add_u32_e32 v243, 3, v240                                // 00000000CF94: 69E7E083
	v_cmp_le_u32_e64 s[40:41], v240, v41                       // 00000000CF98: D0CB0028 000253F0
	v_add_u32_e32 v240, 64, v240                               // 00000000CFA0: 69E1E0C0
	s_nop 0                                                    // 00000000CFA4: BF800000
	v_cndmask_b32_e64 v144, v69, v144, s[40:41]                // 00000000CFA8: D1000090 00A32145
	v_cmp_le_u32_e64 s[40:41], v241, v41                       // 00000000CFB0: D0CB0028 000253F1
	v_add_u32_e32 v241, 64, v241                               // 00000000CFB8: 69E3E2C0
	s_nop 0                                                    // 00000000CFBC: BF800000
	v_cndmask_b32_e64 v145, v69, v145, s[40:41]                // 00000000CFC0: D1000091 00A32345
	v_cmp_le_u32_e64 s[40:41], v242, v41                       // 00000000CFC8: D0CB0028 000253F2
	v_add_u32_e32 v242, 64, v242                               // 00000000CFD0: 69E5E4C0
	s_nop 0                                                    // 00000000CFD4: BF800000
	v_cndmask_b32_e64 v146, v69, v146, s[40:41]                // 00000000CFD8: D1000092 00A32545
	v_cmp_le_u32_e64 s[40:41], v243, v41                       // 00000000CFE0: D0CB0028 000253F3
	v_add_u32_e32 v243, 64, v243                               // 00000000CFE8: 69E7E6C0
	s_nop 0                                                    // 00000000CFEC: BF800000
	v_cndmask_b32_e64 v147, v69, v147, s[40:41]                // 00000000CFF0: D1000093 00A32745
	v_cmp_le_u32_e64 s[40:41], v240, v41                       // 00000000CFF8: D0CB0028 000253F0
	v_add_u32_e32 v240, 64, v240                               // 00000000D000: 69E1E0C0
	s_nop 0                                                    // 00000000D004: BF800000
	v_cndmask_b32_e64 v148, v69, v148, s[40:41]                // 00000000D008: D1000094 00A32945
	v_cmp_le_u32_e64 s[40:41], v241, v41                       // 00000000D010: D0CB0028 000253F1
	v_add_u32_e32 v241, 64, v241                               // 00000000D018: 69E3E2C0
	s_nop 0                                                    // 00000000D01C: BF800000
	v_cndmask_b32_e64 v149, v69, v149, s[40:41]                // 00000000D020: D1000095 00A32B45
	v_cmp_le_u32_e64 s[40:41], v242, v41                       // 00000000D028: D0CB0028 000253F2
	v_add_u32_e32 v242, 64, v242                               // 00000000D030: 69E5E4C0
	s_nop 0                                                    // 00000000D034: BF800000
	v_cndmask_b32_e64 v150, v69, v150, s[40:41]                // 00000000D038: D1000096 00A32D45
	v_cmp_le_u32_e64 s[40:41], v243, v41                       // 00000000D040: D0CB0028 000253F3
	v_add_u32_e32 v243, 64, v243                               // 00000000D048: 69E7E6C0
	s_nop 0                                                    // 00000000D04C: BF800000
	v_cndmask_b32_e64 v151, v69, v151, s[40:41]                // 00000000D050: D1000097 00A32F45
	v_cmp_le_u32_e64 s[40:41], v240, v41                       // 00000000D058: D0CB0028 000253F0
	v_add_u32_e32 v240, 64, v240                               // 00000000D060: 69E1E0C0
	s_nop 0                                                    // 00000000D064: BF800000
	v_cndmask_b32_e64 v152, v69, v152, s[40:41]                // 00000000D068: D1000098 00A33145
	v_cmp_le_u32_e64 s[40:41], v241, v41                       // 00000000D070: D0CB0028 000253F1
	v_add_u32_e32 v241, 64, v241                               // 00000000D078: 69E3E2C0
	s_nop 0                                                    // 00000000D07C: BF800000
	v_cndmask_b32_e64 v153, v69, v153, s[40:41]                // 00000000D080: D1000099 00A33345
	v_cmp_le_u32_e64 s[40:41], v242, v41                       // 00000000D088: D0CB0028 000253F2
	v_add_u32_e32 v242, 64, v242                               // 00000000D090: 69E5E4C0
	s_nop 0                                                    // 00000000D094: BF800000
	v_cndmask_b32_e64 v154, v69, v154, s[40:41]                // 00000000D098: D100009A 00A33545
	v_cmp_le_u32_e64 s[40:41], v243, v41                       // 00000000D0A0: D0CB0028 000253F3
	v_add_u32_e32 v243, 64, v243                               // 00000000D0A8: 69E7E6C0
	s_nop 0                                                    // 00000000D0AC: BF800000
	v_cndmask_b32_e64 v155, v69, v155, s[40:41]                // 00000000D0B0: D100009B 00A33745
	v_cmp_le_u32_e64 s[40:41], v240, v41                       // 00000000D0B8: D0CB0028 000253F0
	v_add_u32_e32 v240, 64, v240                               // 00000000D0C0: 69E1E0C0
	s_nop 0                                                    // 00000000D0C4: BF800000
	v_cndmask_b32_e64 v156, v69, v156, s[40:41]                // 00000000D0C8: D100009C 00A33945
	v_cmp_le_u32_e64 s[40:41], v241, v41                       // 00000000D0D0: D0CB0028 000253F1
	v_add_u32_e32 v241, 64, v241                               // 00000000D0D8: 69E3E2C0
	s_nop 0                                                    // 00000000D0DC: BF800000
	v_cndmask_b32_e64 v157, v69, v157, s[40:41]                // 00000000D0E0: D100009D 00A33B45
	v_cmp_le_u32_e64 s[40:41], v242, v41                       // 00000000D0E8: D0CB0028 000253F2
	v_add_u32_e32 v242, 64, v242                               // 00000000D0F0: 69E5E4C0
	s_nop 0                                                    // 00000000D0F4: BF800000
	v_cndmask_b32_e64 v158, v69, v158, s[40:41]                // 00000000D0F8: D100009E 00A33D45
	v_cmp_le_u32_e64 s[40:41], v243, v41                       // 00000000D100: D0CB0028 000253F3
	v_add_u32_e32 v243, 64, v243                               // 00000000D108: 69E7E6C0
	s_nop 0                                                    // 00000000D10C: BF800000
	v_cndmask_b32_e64 v159, v69, v159, s[40:41]                // 00000000D110: D100009F 00A33F45

000000000000d118 <label_2BC6>:
	s_add_u32 s90, s91, s90                                    // 00000000D118: 805A5A5B
	v_mov_b32_e32 v62, v144                                    // 00000000D11C: 7E7C0390
	v_max3_f32 v62, v144, v145, v62                            // 00000000D120: D1D3003E 04FB2390
	v_max3_f32 v62, v146, v147, v62                            // 00000000D128: D1D3003E 04FB2792
	v_max3_f32 v62, v148, v149, v62                            // 00000000D130: D1D3003E 04FB2B94
	v_max3_f32 v62, v150, v151, v62                            // 00000000D138: D1D3003E 04FB2F96
	v_max3_f32 v62, v152, v153, v62                            // 00000000D140: D1D3003E 04FB3398
	v_max3_f32 v62, v154, v155, v62                            // 00000000D148: D1D3003E 04FB379A
	v_max3_f32 v62, v156, v157, v62                            // 00000000D150: D1D3003E 04FB3B9C
	v_max3_f32 v62, v158, v159, v62                            // 00000000D158: D1D3003E 04FB3F9E
	ds_write_b32 v11, v62 offset:16896                         // 00000000D160: D81A4200 00003E0B
	v_mul_f32_e32 v232, v64, v232                              // 00000000D168: 0BD1D140
	v_mul_f32_e32 v233, v64, v233                              // 00000000D16C: 0BD3D340
	v_mul_f32_e32 v234, v64, v234                              // 00000000D170: 0BD5D540
	v_mul_f32_e32 v235, v64, v235                              // 00000000D174: 0BD7D740
	v_mul_f32_e32 v236, v64, v236                              // 00000000D178: 0BD9D940
	v_mul_f32_e32 v237, v64, v237                              // 00000000D17C: 0BDBDB40
	v_mul_f32_e32 v238, v64, v238                              // 00000000D180: 0BDDDD40
	v_mul_f32_e32 v239, v64, v239                              // 00000000D184: 0BDFDF40
	s_waitcnt lgkmcnt(0)                                       // 00000000D188: BF8CC07F
	s_barrier                                                  // 00000000D18C: BF8A0000
	ds_read_b32 v80, v10 offset:16896                          // 00000000D190: D86C4200 5000000A
	ds_read_b32 v81, v10 offset:16960                          // 00000000D198: D86C4240 5100000A
	ds_read_b32 v82, v10 offset:17024                          // 00000000D1A0: D86C4280 5200000A
	ds_read_b32 v83, v10 offset:17088                          // 00000000D1A8: D86C42C0 5300000A
	ds_read_b32 v84, v10 offset:17152                          // 00000000D1B0: D86C4300 5400000A
	ds_read_b32 v85, v10 offset:17216                          // 00000000D1B8: D86C4340 5500000A
	ds_read_b32 v86, v10 offset:17280                          // 00000000D1C0: D86C4380 5600000A
	ds_read_b32 v87, v10 offset:17344                          // 00000000D1C8: D86C43C0 5700000A
	ds_read_b32 v88, v10 offset:17408                          // 00000000D1D0: D86C4400 5800000A
	ds_read_b32 v89, v10 offset:17472                          // 00000000D1D8: D86C4440 5900000A
	ds_read_b32 v90, v10 offset:17536                          // 00000000D1E0: D86C4480 5A00000A
	ds_read_b32 v91, v10 offset:17600                          // 00000000D1E8: D86C44C0 5B00000A
	ds_read_b32 v92, v10 offset:17664                          // 00000000D1F0: D86C4500 5C00000A
	ds_read_b32 v93, v10 offset:17728                          // 00000000D1F8: D86C4540 5D00000A
	ds_read_b32 v94, v10 offset:17792                          // 00000000D200: D86C4580 5E00000A
	ds_read_b32 v95, v10 offset:17856                          // 00000000D208: D86C45C0 5F00000A
	v_mul_f32_e32 v200, v59, v200                              // 00000000D210: 0B91913B
	v_mul_f32_e32 v201, v59, v201                              // 00000000D214: 0B93933B
	v_mul_f32_e32 v202, v59, v202                              // 00000000D218: 0B95953B
	v_mul_f32_e32 v203, v59, v203                              // 00000000D21C: 0B97973B
	v_mul_f32_e32 v204, v59, v204                              // 00000000D220: 0B99993B
	v_mul_f32_e32 v205, v59, v205                              // 00000000D224: 0B9B9B3B
	v_mul_f32_e32 v206, v59, v206                              // 00000000D228: 0B9D9D3B
	v_mul_f32_e32 v207, v59, v207                              // 00000000D22C: 0B9F9F3B
	s_waitcnt lgkmcnt(0)                                       // 00000000D230: BF8CC07F
	v_max3_f32 v62, v80, v81, v62                              // 00000000D234: D1D3003E 04FAA350
	v_max3_f32 v62, v82, v83, v62                              // 00000000D23C: D1D3003E 04FAA752
	v_max3_f32 v62, v84, v85, v62                              // 00000000D244: D1D3003E 04FAAB54
	v_max3_f32 v62, v86, v87, v62                              // 00000000D24C: D1D3003E 04FAAF56
	v_max3_f32 v62, v88, v89, v62                              // 00000000D254: D1D3003E 04FAB358
	v_max3_f32 v62, v90, v91, v62                              // 00000000D25C: D1D3003E 04FAB75A
	v_max3_f32 v62, v92, v93, v62                              // 00000000D264: D1D3003E 04FABB5C
	v_max3_f32 v62, v94, v95, v62                              // 00000000D26C: D1D3003E 04FABF5E
	v_mov_b32_e32 v41, 0xff800000                              // 00000000D274: 7E5202FF FF800000
	v_cmp_eq_u32_e64 s[40:41], v41, v15                        // 00000000D27C: D0CA0028 00021F29
	s_nop 1                                                    // 00000000D284: BF800001
	v_max_f32_e32 v18, v62, v15                                // 00000000D288: 16241F3E
	v_mul_f32_e32 v67, s64, v18                                // 00000000D28C: 0A862440
	v_fma_f32 v144, v144, s64, -v67                            // 00000000D290: D1CB0090 850C8190
	v_fma_f32 v145, v145, s64, -v67                            // 00000000D298: D1CB0091 850C8191
	v_fma_f32 v146, v146, s64, -v67                            // 00000000D2A0: D1CB0092 850C8192
	v_fma_f32 v147, v147, s64, -v67                            // 00000000D2A8: D1CB0093 850C8193
	v_fma_f32 v148, v148, s64, -v67                            // 00000000D2B0: D1CB0094 850C8194
	v_fma_f32 v149, v149, s64, -v67                            // 00000000D2B8: D1CB0095 850C8195
	v_fma_f32 v150, v150, s64, -v67                            // 00000000D2C0: D1CB0096 850C8196
	v_fma_f32 v151, v151, s64, -v67                            // 00000000D2C8: D1CB0097 850C8197
	v_fma_f32 v152, v152, s64, -v67                            // 00000000D2D0: D1CB0098 850C8198
	v_fma_f32 v153, v153, s64, -v67                            // 00000000D2D8: D1CB0099 850C8199
	v_fma_f32 v154, v154, s64, -v67                            // 00000000D2E0: D1CB009A 850C819A
	v_fma_f32 v155, v155, s64, -v67                            // 00000000D2E8: D1CB009B 850C819B
	v_fma_f32 v156, v156, s64, -v67                            // 00000000D2F0: D1CB009C 850C819C
	v_fma_f32 v157, v157, s64, -v67                            // 00000000D2F8: D1CB009D 850C819D
	v_fma_f32 v158, v158, s64, -v67                            // 00000000D300: D1CB009E 850C819E
	v_fma_f32 v159, v159, s64, -v67                            // 00000000D308: D1CB009F 850C819F
	v_exp_f32_e32 v144, v144                                   // 00000000D310: 7F204190
	v_exp_f32_e32 v145, v145                                   // 00000000D314: 7F224191
	v_exp_f32_e32 v146, v146                                   // 00000000D318: 7F244192
	v_exp_f32_e32 v147, v147                                   // 00000000D31C: 7F264193
	v_exp_f32_e32 v148, v148                                   // 00000000D320: 7F284194
	v_exp_f32_e32 v149, v149                                   // 00000000D324: 7F2A4195
	v_exp_f32_e32 v150, v150                                   // 00000000D328: 7F2C4196
	v_exp_f32_e32 v151, v151                                   // 00000000D32C: 7F2E4197
	v_exp_f32_e32 v152, v152                                   // 00000000D330: 7F304198
	v_exp_f32_e32 v153, v153                                   // 00000000D334: 7F324199
	v_exp_f32_e32 v154, v154                                   // 00000000D338: 7F34419A
	v_exp_f32_e32 v155, v155                                   // 00000000D33C: 7F36419B
	v_exp_f32_e32 v156, v156                                   // 00000000D340: 7F38419C
	v_exp_f32_e32 v157, v157                                   // 00000000D344: 7F3A419D
	v_exp_f32_e32 v158, v158                                   // 00000000D348: 7F3C419E
	v_exp_f32_e32 v159, v159                                   // 00000000D34C: 7F3E419F
	v_mul_f32_dpp v240, v252, v144 quad_perm:[0,0,0,0] row_mask:0xf bank_mask:0xf// 00000000D350: 0BE120FA FF0000FC
	v_mul_f32_dpp v241, v252, v145 quad_perm:[1,1,1,1] row_mask:0xf bank_mask:0xf// 00000000D358: 0BE322FA FF0055FC
	v_mul_f32_dpp v242, v252, v146 quad_perm:[2,2,2,2] row_mask:0xf bank_mask:0xf// 00000000D360: 0BE524FA FF00AAFC
	v_mul_f32_dpp v243, v252, v147 quad_perm:[3,3,3,3] row_mask:0xf bank_mask:0xf// 00000000D368: 0BE726FA FF00FFFC
	v_mul_f32_dpp v244, v253, v148 quad_perm:[0,0,0,0] row_mask:0xf bank_mask:0xf// 00000000D370: 0BE928FA FF0000FD
	v_mul_f32_dpp v245, v253, v149 quad_perm:[1,1,1,1] row_mask:0xf bank_mask:0xf// 00000000D378: 0BEB2AFA FF0055FD
	v_mul_f32_dpp v246, v253, v150 quad_perm:[2,2,2,2] row_mask:0xf bank_mask:0xf// 00000000D380: 0BED2CFA FF00AAFD
	v_mul_f32_dpp v247, v253, v151 quad_perm:[3,3,3,3] row_mask:0xf bank_mask:0xf// 00000000D388: 0BEF2EFA FF00FFFD
	v_mul_f32_dpp v248, v254, v152 quad_perm:[0,0,0,0] row_mask:0xf bank_mask:0xf// 00000000D390: 0BF130FA FF0000FE
	v_mul_f32_dpp v249, v254, v153 quad_perm:[1,1,1,1] row_mask:0xf bank_mask:0xf// 00000000D398: 0BF332FA FF0055FE
	v_mul_f32_dpp v250, v254, v154 quad_perm:[2,2,2,2] row_mask:0xf bank_mask:0xf// 00000000D3A0: 0BF534FA FF00AAFE
	v_mul_f32_dpp v251, v254, v155 quad_perm:[3,3,3,3] row_mask:0xf bank_mask:0xf// 00000000D3A8: 0BF736FA FF00FFFE
	v_mul_f32_dpp v252, v255, v156 quad_perm:[0,0,0,0] row_mask:0xf bank_mask:0xf// 00000000D3B0: 0BF938FA FF0000FF
	v_mul_f32_dpp v253, v255, v157 quad_perm:[1,1,1,1] row_mask:0xf bank_mask:0xf// 00000000D3B8: 0BFB3AFA FF0055FF
	v_mul_f32_dpp v254, v255, v158 quad_perm:[2,2,2,2] row_mask:0xf bank_mask:0xf// 00000000D3C0: 0BFD3CFA FF00AAFF
	v_mul_f32_dpp v255, v255, v159 quad_perm:[3,3,3,3] row_mask:0xf bank_mask:0xf// 00000000D3C8: 0BFF3EFA FF00FFFF
	v_mov_b32_e32 v62, 0x358637bd                              // 00000000D3D0: 7E7C02FF 358637BD
	v_max3_f32 v62, |v240|, |v241|, v62                        // 00000000D3D8: D1D3033E 04FBE3F0
	v_max3_f32 v62, |v242|, |v243|, v62                        // 00000000D3E0: D1D3033E 04FBE7F2
	v_max3_f32 v62, |v244|, |v245|, v62                        // 00000000D3E8: D1D3033E 04FBEBF4
	v_max3_f32 v62, |v246|, |v247|, v62                        // 00000000D3F0: D1D3033E 04FBEFF6
	v_max3_f32 v62, |v248|, |v249|, v62                        // 00000000D3F8: D1D3033E 04FBF3F8
	v_max3_f32 v62, |v250|, |v251|, v62                        // 00000000D400: D1D3033E 04FBF7FA
	v_max3_f32 v62, |v252|, |v253|, v62                        // 00000000D408: D1D3033E 04FBFBFC
	v_max3_f32 v62, |v254|, |v255|, v62                        // 00000000D410: D1D3033E 04FBFFFE
	ds_write_b32 v11, v62 offset:20992                         // 00000000D418: D81A5200 00003E0B
	v_sub_f32_e32 v64, v15, v18                                // 00000000D420: 0480250F
	v_cndmask_b32_e64 v64, v64, 0, s[40:41]                    // 00000000D424: D1000040 00A10140
	v_mov_b32_e32 v15, v18                                     // 00000000D42C: 7E1E0312
	v_mul_f32_e32 v64, s64, v64                                // 00000000D430: 0A808040
	v_exp_f32_e32 v64, v64                                     // 00000000D434: 7E804140
	s_waitcnt lgkmcnt(0)                                       // 00000000D438: BF8CC07F
	s_barrier                                                  // 00000000D43C: BF8A0000
	ds_read_b32 v80, v10 offset:20992                          // 00000000D440: D86C5200 5000000A
	ds_read_b32 v81, v10 offset:21056                          // 00000000D448: D86C5240 5100000A
	ds_read_b32 v82, v10 offset:21120                          // 00000000D450: D86C5280 5200000A
	ds_read_b32 v83, v10 offset:21184                          // 00000000D458: D86C52C0 5300000A
	ds_read_b32 v84, v10 offset:21248                          // 00000000D460: D86C5300 5400000A
	ds_read_b32 v85, v10 offset:21312                          // 00000000D468: D86C5340 5500000A
	ds_read_b32 v86, v10 offset:21376                          // 00000000D470: D86C5380 5600000A
	ds_read_b32 v87, v10 offset:21440                          // 00000000D478: D86C53C0 5700000A
	ds_read_b32 v88, v10 offset:21504                          // 00000000D480: D86C5400 5800000A
	ds_read_b32 v89, v10 offset:21568                          // 00000000D488: D86C5440 5900000A
	ds_read_b32 v90, v10 offset:21632                          // 00000000D490: D86C5480 5A00000A
	ds_read_b32 v91, v10 offset:21696                          // 00000000D498: D86C54C0 5B00000A
	ds_read_b32 v92, v10 offset:21760                          // 00000000D4A0: D86C5500 5C00000A
	ds_read_b32 v93, v10 offset:21824                          // 00000000D4A8: D86C5540 5D00000A
	ds_read_b32 v94, v10 offset:21888                          // 00000000D4B0: D86C5580 5E00000A
	ds_read_b32 v95, v10 offset:21952                          // 00000000D4B8: D86C55C0 5F00000A
	v_mul_f32_e32 v48, v64, v48                                // 00000000D4C0: 0A606140
	v_mov_b32_e32 v18, v144                                    // 00000000D4C4: 7E240390
	v_add_f32_e32 v18, v145, v18                               // 00000000D4C8: 02242591
	v_add_f32_e32 v18, v146, v18                               // 00000000D4CC: 02242592
	v_add_f32_e32 v18, v147, v18                               // 00000000D4D0: 02242593
	v_add_f32_e32 v18, v148, v18                               // 00000000D4D4: 02242594
	v_add_f32_e32 v18, v149, v18                               // 00000000D4D8: 02242595
	v_add_f32_e32 v18, v150, v18                               // 00000000D4DC: 02242596
	v_add_f32_e32 v18, v151, v18                               // 00000000D4E0: 02242597
	v_add_f32_e32 v18, v152, v18                               // 00000000D4E4: 02242598
	v_add_f32_e32 v18, v153, v18                               // 00000000D4E8: 02242599
	v_add_f32_e32 v18, v154, v18                               // 00000000D4EC: 0224259A
	v_add_f32_e32 v18, v155, v18                               // 00000000D4F0: 0224259B
	v_add_f32_e32 v18, v156, v18                               // 00000000D4F4: 0224259C
	v_add_f32_e32 v18, v157, v18                               // 00000000D4F8: 0224259D
	v_add_f32_e32 v18, v158, v18                               // 00000000D4FC: 0224259E
	v_add_f32_e32 v18, v159, v18                               // 00000000D500: 0224259F
	v_add_f32_e32 v48, v18, v48                                // 00000000D504: 02606112
	s_waitcnt lgkmcnt(0)                                       // 00000000D508: BF8CC07F
	v_max3_f32 v62, |v80|, |v81|, v62                          // 00000000D50C: D1D3033E 04FAA350
	v_max3_f32 v62, |v82|, |v83|, v62                          // 00000000D514: D1D3033E 04FAA752
	v_max3_f32 v62, |v84|, |v85|, v62                          // 00000000D51C: D1D3033E 04FAAB54
	v_max3_f32 v62, |v86|, |v87|, v62                          // 00000000D524: D1D3033E 04FAAF56
	v_max3_f32 v62, |v88|, |v89|, v62                          // 00000000D52C: D1D3033E 04FAB358
	v_max3_f32 v62, |v90|, |v91|, v62                          // 00000000D534: D1D3033E 04FAB75A
	v_max3_f32 v62, |v92|, |v93|, v62                          // 00000000D53C: D1D3033E 04FABB5C
	v_max3_f32 v62, |v94|, |v95|, v62                          // 00000000D544: D1D3033E 04FABF5E
	s_nop 2                                                    // 00000000D54C: BF800002
	v_rcp_f32_e32 v62, v62                                     // 00000000D550: 7E7C453E
	s_nop 1                                                    // 00000000D554: BF800001
	v_mul_f32_e32 v62, 0x43e00000, v62                         // 00000000D558: 0A7C7CFF 43E00000
	v_mul_f32_e32 v144, v62, v240                              // 00000000D560: 0B21E13E
	v_mul_f32_e32 v145, v62, v241                              // 00000000D564: 0B23E33E
	v_mul_f32_e32 v146, v62, v242                              // 00000000D568: 0B25E53E
	v_mul_f32_e32 v147, v62, v243                              // 00000000D56C: 0B27E73E
	v_mul_f32_e32 v148, v62, v244                              // 00000000D570: 0B29E93E
	v_mul_f32_e32 v149, v62, v245                              // 00000000D574: 0B2BEB3E
	v_mul_f32_e32 v150, v62, v246                              // 00000000D578: 0B2DED3E
	v_mul_f32_e32 v151, v62, v247                              // 00000000D57C: 0B2FEF3E
	v_mul_f32_e32 v152, v62, v248                              // 00000000D580: 0B31F13E
	v_mul_f32_e32 v153, v62, v249                              // 00000000D584: 0B33F33E
	v_mul_f32_e32 v154, v62, v250                              // 00000000D588: 0B35F53E
	v_mul_f32_e32 v155, v62, v251                              // 00000000D58C: 0B37F73E
	v_mul_f32_e32 v156, v62, v252                              // 00000000D590: 0B39F93E
	v_mul_f32_e32 v157, v62, v253                              // 00000000D594: 0B3BFB3E
	v_mul_f32_e32 v158, v62, v254                              // 00000000D598: 0B3DFD3E
	v_mul_f32_e32 v159, v62, v255                              // 00000000D59C: 0B3FFF3E
	v_cvt_pk_fp8_f32 v144, v144, v145                          // 00000000D5A0: D2A20090 00032390
	v_cvt_pk_fp8_f32 v144, v146, v147 op_sel:[0,0,1]           // 00000000D5A8: D2A24090 00032792
	v_cvt_pk_fp8_f32 v145, v148, v149                          // 00000000D5B0: D2A20091 00032B94
	v_cvt_pk_fp8_f32 v145, v150, v151 op_sel:[0,0,1]           // 00000000D5B8: D2A24091 00032F96
	v_cvt_pk_fp8_f32 v146, v152, v153                          // 00000000D5C0: D2A20092 00033398
	v_cvt_pk_fp8_f32 v146, v154, v155 op_sel:[0,0,1]           // 00000000D5C8: D2A24092 0003379A
	v_cvt_pk_fp8_f32 v147, v156, v157                          // 00000000D5D0: D2A20093 00033B9C
	v_cvt_pk_fp8_f32 v147, v158, v159 op_sel:[0,0,1]           // 00000000D5D8: D2A24093 00033F9E
	ds_write_b32 v13, v144 offset:29184                        // 00000000D5E0: D81A7200 0000900D
	ds_write_b32 v13, v145 offset:30208                        // 00000000D5E8: D81A7600 0000910D
	ds_write_b32 v13, v146 offset:31232                        // 00000000D5F0: D81A7A00 0000920D
	ds_write_b32 v13, v147 offset:32256                        // 00000000D5F8: D81A7E00 0000930D
	v_add_f32_e32 v232, v232, v200                             // 00000000D600: 03D191E8
	v_add_f32_e32 v233, v233, v201                             // 00000000D604: 03D393E9
	v_add_f32_e32 v234, v234, v202                             // 00000000D608: 03D595EA
	v_add_f32_e32 v235, v235, v203                             // 00000000D60C: 03D797EB
	v_add_f32_e32 v236, v236, v204                             // 00000000D610: 03D999EC
	v_add_f32_e32 v237, v237, v205                             // 00000000D614: 03DB9BED
	v_add_f32_e32 v238, v238, v206                             // 00000000D618: 03DD9DEE
	v_add_f32_e32 v239, v239, v207                             // 00000000D61C: 03DF9FEF
	v_rcp_f32_e32 v59, v62                                     // 00000000D620: 7E76453E
	s_waitcnt lgkmcnt(0)                                       // 00000000D624: BF8CC07F
	s_barrier                                                  // 00000000D628: BF8A0000
	ds_read_b64 v[144:145], v12 offset:29184                   // 00000000D62C: D8EC7200 9000000C
	ds_read_b64 v[146:147], v12 offset:29312                   // 00000000D634: D8EC7280 9200000C
	ds_read_b64 v[148:149], v12 offset:30208                   // 00000000D63C: D8EC7600 9400000C
	ds_read_b64 v[150:151], v12 offset:30336                   // 00000000D644: D8EC7680 9600000C
	ds_read_b64 v[152:153], v12 offset:31232                   // 00000000D64C: D8EC7A00 9800000C
	ds_read_b64 v[154:155], v12 offset:31360                   // 00000000D654: D8EC7A80 9A00000C
	ds_read_b64 v[156:157], v12 offset:32256                   // 00000000D65C: D8EC7E00 9C00000C
	ds_read_b64 v[158:159], v12 offset:32384                   // 00000000D664: D8EC7E80 9E00000C
	s_waitcnt vmcnt(15)                                        // 00000000D66C: BF8C0F7F
	v_mfma_f32_16x16x32_fp8_fp8 v[192:195], a[96:97], v[128:129], 0// 00000000D670: D3F300C0 0A030160
	v_mfma_f32_16x16x32_fp8_fp8 v[192:195], a[98:99], v[130:131], v[192:195]// 00000000D678: D3F300C0 0F030562
	buffer_load_dwordx4 a[80:83], v33, s[20:23], 0 offen offset:1024// 00000000D680: E05C1400 80855021
	v_mfma_f32_16x16x32_fp8_fp8 v[192:195], a[100:101], v[132:133], v[192:195]// 00000000D688: D3F300C0 0F030964
	v_mfma_f32_16x16x32_fp8_fp8 v[192:195], a[102:103], v[134:135], v[192:195]// 00000000D690: D3F300C0 0F030D66
	v_mfma_f32_16x16x32_fp8_fp8 v[192:195], a[104:105], v[136:137], v[192:195]// 00000000D698: D3F300C0 0F031168
	v_mfma_f32_16x16x32_fp8_fp8 v[192:195], a[106:107], v[138:139], v[192:195]// 00000000D6A0: D3F300C0 0F03156A
	buffer_load_dwordx4 a[84:87], v34, s[20:23], 0 offen offset:1024// 00000000D6A8: E05C1400 80855422
	v_mfma_f32_16x16x32_fp8_fp8 v[192:195], a[108:109], v[140:141], v[192:195]// 00000000D6B0: D3F300C0 0F03196C
	v_mfma_f32_16x16x32_fp8_fp8 v[192:195], a[110:111], v[142:143], v[192:195]// 00000000D6B8: D3F300C0 0F031D6E
	v_mfma_f32_16x16x32_fp8_fp8 v[196:199], a[112:113], v[128:129], 0// 00000000D6C0: D3F300C4 0A030170
	v_mfma_f32_16x16x32_fp8_fp8 v[196:199], a[114:115], v[130:131], v[196:199]// 00000000D6C8: D3F300C4 0F130572
	buffer_load_dwordx4 a[88:91], v35, s[20:23], 0 offen offset:1024// 00000000D6D0: E05C1400 80855823
	v_mfma_f32_16x16x32_fp8_fp8 v[196:199], a[116:117], v[132:133], v[196:199]// 00000000D6D8: D3F300C4 0F130974
	v_mfma_f32_16x16x32_fp8_fp8 v[196:199], a[118:119], v[134:135], v[196:199]// 00000000D6E0: D3F300C4 0F130D76
	v_mfma_f32_16x16x32_fp8_fp8 v[196:199], a[120:121], v[136:137], v[196:199]// 00000000D6E8: D3F300C4 0F131178
	v_mfma_f32_16x16x32_fp8_fp8 v[196:199], a[122:123], v[138:139], v[196:199]// 00000000D6F0: D3F300C4 0F13157A
	buffer_load_dwordx4 a[92:95], v36, s[20:23], 0 offen offset:1024// 00000000D6F8: E05C1400 80855C24
	v_mfma_f32_16x16x32_fp8_fp8 v[196:199], a[124:125], v[140:141], v[196:199]// 00000000D700: D3F300C4 0F13197C
	s_lshr_b32 s57, s70, 4                                     // 00000000D708: 8F398446
	s_add_u32 s57, 48, s57                                     // 00000000D70C: 803939B0
	v_mfma_f32_16x16x32_fp8_fp8 v[196:199], a[126:127], v[142:143], v[196:199]// 00000000D710: D3F300C4 0F131D7E
	s_cmp_ge_u32 s57, s73                                      // 00000000D718: BF094939
	s_cselect_b32 s56, 0, s56                                  // 00000000D71C: 85383880
	v_mfma_f32_16x16x32_fp8_fp8 v[200:203], a[96:97], v[144:145], 0// 00000000D720: D3F300C8 0A032160
	v_mfma_f32_16x16x32_fp8_fp8 v[200:203], a[98:99], v[146:147], v[200:203]// 00000000D728: D3F300C8 0F232562
	v_mfma_f32_16x16x32_fp8_fp8 v[200:203], a[100:101], v[148:149], v[200:203]// 00000000D730: D3F300C8 0F232964
	v_mfma_f32_16x16x32_fp8_fp8 v[200:203], a[102:103], v[150:151], v[200:203]// 00000000D738: D3F300C8 0F232D66
	v_mfma_f32_16x16x32_fp8_fp8 v[200:203], a[104:105], v[152:153], v[200:203]// 00000000D740: D3F300C8 0F233168
	v_mfma_f32_16x16x32_fp8_fp8 v[200:203], a[106:107], v[154:155], v[200:203]// 00000000D748: D3F300C8 0F23356A
	v_mfma_f32_16x16x32_fp8_fp8 v[200:203], a[108:109], v[156:157], v[200:203]// 00000000D750: D3F300C8 0F23396C
	v_mfma_f32_16x16x32_fp8_fp8 v[200:203], a[110:111], v[158:159], v[200:203]// 00000000D758: D3F300C8 0F233D6E
	v_mfma_f32_16x16x32_fp8_fp8 v[204:207], a[112:113], v[144:145], 0// 00000000D760: D3F300CC 0A032170
	v_mfma_f32_16x16x32_fp8_fp8 v[204:207], a[114:115], v[146:147], v[204:207]// 00000000D768: D3F300CC 0F332572
	v_mfma_f32_16x16x32_fp8_fp8 v[204:207], a[116:117], v[148:149], v[204:207]// 00000000D770: D3F300CC 0F332974
	v_mfma_f32_16x16x32_fp8_fp8 v[204:207], a[118:119], v[150:151], v[204:207]// 00000000D778: D3F300CC 0F332D76
	v_mfma_f32_16x16x32_fp8_fp8 v[204:207], a[120:121], v[152:153], v[204:207]// 00000000D780: D3F300CC 0F333178
	v_mfma_f32_16x16x32_fp8_fp8 v[204:207], a[122:123], v[154:155], v[204:207]// 00000000D788: D3F300CC 0F33357A
	v_mfma_f32_16x16x32_fp8_fp8 v[204:207], a[124:125], v[156:157], v[204:207]// 00000000D790: D3F300CC 0F33397C
	v_mfma_f32_16x16x32_fp8_fp8 v[204:207], a[126:127], v[158:159], v[204:207]// 00000000D798: D3F300CC 0F333D7E
	v_add_u32_e32 v1, s56, v1                                  // 00000000D7A0: 68020238
	s_addk_i32 s70, 0x100                                      // 00000000D7A4: B7460100
	s_cmp_lt_i32 s70, s71                                      // 00000000D7A8: BF044746
	s_cbranch_scc0 label_2D6D                                  // 00000000D7AC: BF840001
	s_branch label_231A                                        // 00000000D7B0: BF82F5AD

000000000000d7b4 <label_2D6D>:
	s_nop 0                                                    // 00000000D7B4: BF800000
	s_nop 0                                                    // 00000000D7B8: BF800000
	s_branch label_37C3                                        // 00000000D7BC: BF820A53

000000000000d7c0 <label_2D70>:
	s_waitcnt vmcnt(8) lgkmcnt(0)                              // 00000000D7C0: BF8C0078
	v_mul_u32_u24_dpp v41, v20, v68 row_newbcast:0 row_mask:0xf bank_mask:0xf// 00000000D7C4: 105288FA FF015014
	v_mul_u32_u24_dpp v42, v20, v68 row_newbcast:4 row_mask:0xf bank_mask:0xf// 00000000D7CC: 105488FA FF015414
	v_mul_u32_u24_dpp v43, v20, v68 row_newbcast:8 row_mask:0xf bank_mask:0xf// 00000000D7D4: 105688FA FF015814
	v_mul_u32_u24_dpp v44, v20, v68 row_newbcast:12 row_mask:0xf bank_mask:0xf// 00000000D7DC: 105888FA FF015C14
	v_add_u32_e32 v29, v41, v6                                 // 00000000D7E4: 683A0D29
	v_add_u32_e32 v30, v42, v6                                 // 00000000D7E8: 683C0D2A
	v_add_u32_e32 v31, v43, v6                                 // 00000000D7EC: 683E0D2B
	v_add_u32_e32 v32, v44, v6                                 // 00000000D7F0: 68400D2C
	v_mul_u32_u24_dpp v41, v20, v78 quad_perm:[0,0,0,0] row_mask:0xf bank_mask:0xf// 00000000D7F4: 10529CFA FF000014
	v_add_u32_e32 v3, v41, v74                                 // 00000000D7FC: 68069529
	v_mul_u32_u24_dpp v41, v20, v78 quad_perm:[0,0,0,0] row_mask:0xf bank_mask:0xf// 00000000D800: 10529CFA FF000014
	v_add_u32_e32 v71, v41, v75                                // 00000000D808: 688E9729
	v_mfma_f32_16x16x32_fp8_fp8 v[128:131], a[0:1], v[96:97], 0// 00000000D80C: D3F30080 0A02C100
	buffer_load_dwordx4 a[32:35], v29, s[16:19], 0 offen       // 00000000D814: E05C1000 8084201D
	v_mfma_f32_16x16x32_fp8_fp8 v[128:131], a[2:3], v[98:99], v[128:131]// 00000000D81C: D3F30080 0E02C502
	v_mfma_f32_16x16x32_fp8_fp8 v[128:131], a[4:5], v[100:101], v[128:131]// 00000000D824: D3F30080 0E02C904
	buffer_load_dword v19, v1, s[24:27], 0 offen               // 00000000D82C: E0501000 80061301
	v_mfma_f32_16x16x32_fp8_fp8 v[128:131], a[6:7], v[102:103], v[128:131]// 00000000D834: D3F30080 0E02CD06
	v_mfma_f32_16x16x32_fp8_fp8 v[132:135], a[8:9], v[96:97], 0// 00000000D83C: D3F30084 0A02C108
	buffer_load_dwordx4 a[36:39], v29, s[16:19], 0 offen offset:1024// 00000000D844: E05C1400 8084241D
	v_mfma_f32_16x16x32_fp8_fp8 v[132:135], a[10:11], v[98:99], v[132:135]// 00000000D84C: D3F30084 0E12C50A
	v_mfma_f32_16x16x32_fp8_fp8 v[132:135], a[12:13], v[100:101], v[132:135]// 00000000D854: D3F30084 0E12C90C
	v_mfma_f32_16x16x32_fp8_fp8 v[132:135], a[14:15], v[102:103], v[132:135]// 00000000D85C: D3F30084 0E12CD0E
	v_mfma_f32_16x16x32_fp8_fp8 v[136:139], a[16:17], v[96:97], 0// 00000000D864: D3F30088 0A02C110
	buffer_load_dwordx4 a[40:43], v30, s[16:19], 0 offen       // 00000000D86C: E05C1000 8084281E
	v_mfma_f32_16x16x32_fp8_fp8 v[136:139], a[18:19], v[98:99], v[136:139]// 00000000D874: D3F30088 0E22C512
	v_mfma_f32_16x16x32_fp8_fp8 v[136:139], a[20:21], v[100:101], v[136:139]// 00000000D87C: D3F30088 0E22C914
	v_mfma_f32_16x16x32_fp8_fp8 v[136:139], a[22:23], v[102:103], v[136:139]// 00000000D884: D3F30088 0E22CD16
	v_mfma_f32_16x16x32_fp8_fp8 v[140:143], a[24:25], v[96:97], 0// 00000000D88C: D3F3008C 0A02C118
	buffer_load_dwordx4 a[44:47], v30, s[16:19], 0 offen offset:1024// 00000000D894: E05C1400 80842C1E
	v_mfma_f32_16x16x32_fp8_fp8 v[140:143], a[26:27], v[98:99], v[140:143]// 00000000D89C: D3F3008C 0E32C51A
	v_mfma_f32_16x16x32_fp8_fp8 v[140:143], a[28:29], v[100:101], v[140:143]// 00000000D8A4: D3F3008C 0E32C91C
	v_mfma_f32_16x16x32_fp8_fp8 v[140:143], a[30:31], v[102:103], v[140:143]// 00000000D8AC: D3F3008C 0E32CD1E
	v_mfma_f32_16x16x32_fp8_fp8 v[144:147], a[0:1], v[104:105], 0// 00000000D8B4: D3F30090 0A02D100
	v_mfma_f32_16x16x32_fp8_fp8 v[144:147], a[2:3], v[106:107], v[144:147]// 00000000D8BC: D3F30090 0E42D502
	v_mfma_f32_16x16x32_fp8_fp8 v[144:147], a[4:5], v[108:109], v[144:147]// 00000000D8C4: D3F30090 0E42D904
	v_mfma_f32_16x16x32_fp8_fp8 v[144:147], a[6:7], v[110:111], v[144:147]// 00000000D8CC: D3F30090 0E42DD06
	v_mfma_f32_16x16x32_fp8_fp8 v[148:151], a[8:9], v[104:105], 0// 00000000D8D4: D3F30094 0A02D108
	v_mfma_f32_16x16x32_fp8_fp8 v[148:151], a[10:11], v[106:107], v[148:151]// 00000000D8DC: D3F30094 0E52D50A
	v_mfma_f32_16x16x32_fp8_fp8 v[148:151], a[12:13], v[108:109], v[148:151]// 00000000D8E4: D3F30094 0E52D90C
	v_mfma_f32_16x16x32_fp8_fp8 v[148:151], a[14:15], v[110:111], v[148:151]// 00000000D8EC: D3F30094 0E52DD0E
	v_mfma_f32_16x16x32_fp8_fp8 v[152:155], a[16:17], v[104:105], 0// 00000000D8F4: D3F30098 0A02D110
	v_mfma_f32_16x16x32_fp8_fp8 v[152:155], a[18:19], v[106:107], v[152:155]// 00000000D8FC: D3F30098 0E62D512
	v_mfma_f32_16x16x32_fp8_fp8 v[152:155], a[20:21], v[108:109], v[152:155]// 00000000D904: D3F30098 0E62D914
	v_mfma_f32_16x16x32_fp8_fp8 v[152:155], a[22:23], v[110:111], v[152:155]// 00000000D90C: D3F30098 0E62DD16
	v_mfma_f32_16x16x32_fp8_fp8 v[156:159], a[24:25], v[104:105], 0// 00000000D914: D3F3009C 0A02D118
	v_mfma_f32_16x16x32_fp8_fp8 v[156:159], a[26:27], v[106:107], v[156:159]// 00000000D91C: D3F3009C 0E72D51A
	v_mfma_f32_16x16x32_fp8_fp8 v[156:159], a[28:29], v[108:109], v[156:159]// 00000000D924: D3F3009C 0E72D91C
	v_mfma_f32_16x16x32_fp8_fp8 v[156:159], a[30:31], v[110:111], v[156:159]// 00000000D92C: D3F3009C 0E72DD1E
	buffer_load_dword v53, v3, s[32:35], 0 offen               // 00000000D934: E0501000 80083503
	v_mov_b32_dpp v41, v52 row_shr:4 row_mask:0xf bank_mask:0xf// 00000000D93C: 7E5202FA FF011434
	v_mov_b32_dpp v42, v52 row_shl:4 row_mask:0xf bank_mask:0xf// 00000000D944: 7E5402FA FF010434
	v_cndmask_b32_e64 v248, v52, v41, s[44:45]                 // 00000000D94C: D10000F8 00B25334
	v_cndmask_b32_e64 v249, v42, v52, s[44:45]                 // 00000000D954: D10000F9 00B2692A
	v_mov_b32_dpp v41, v248 row_shr:8 row_mask:0xf bank_mask:0xf// 00000000D95C: 7E5202FA FF0118F8
	v_mov_b32_dpp v42, v248 row_shl:8 row_mask:0xf bank_mask:0xf// 00000000D964: 7E5402FA FF0108F8
	v_mov_b32_dpp v43, v249 row_shr:8 row_mask:0xf bank_mask:0xf// 00000000D96C: 7E5602FA FF0118F9
	v_mov_b32_dpp v44, v249 row_shl:8 row_mask:0xf bank_mask:0xf// 00000000D974: 7E5802FA FF0108F9
	v_mov_b32_e32 v45, v248                                    // 00000000D97C: 7E5A03F8
	v_mov_b32_e32 v46, v249                                    // 00000000D980: 7E5C03F9
	v_cndmask_b32_e64 v248, v45, v41, s[42:43]                 // 00000000D984: D10000F8 00AA532D
	v_cndmask_b32_e64 v250, v45, v42, s[78:79]                 // 00000000D98C: D10000FA 013A552D
	v_cndmask_b32_e64 v249, v46, v43, s[42:43]                 // 00000000D994: D10000F9 00AA572E
	v_cndmask_b32_e64 v251, v46, v44, s[78:79]                 // 00000000D99C: D10000FB 013A592E
	v_mov_b32_dpp v41, v72 row_shr:4 row_mask:0xf bank_mask:0xf// 00000000D9A4: 7E5202FA FF011448
	v_mov_b32_dpp v42, v72 row_shl:4 row_mask:0xf bank_mask:0xf// 00000000D9AC: 7E5402FA FF010448
	v_cndmask_b32_e64 v252, v72, v41, s[44:45]                 // 00000000D9B4: D10000FC 00B25348
	v_cndmask_b32_e64 v253, v42, v72, s[44:45]                 // 00000000D9BC: D10000FD 00B2912A
	v_mov_b32_dpp v41, v252 row_shr:8 row_mask:0xf bank_mask:0xf// 00000000D9C4: 7E5202FA FF0118FC
	v_mov_b32_dpp v42, v252 row_shl:8 row_mask:0xf bank_mask:0xf// 00000000D9CC: 7E5402FA FF0108FC
	v_mov_b32_dpp v43, v253 row_shr:8 row_mask:0xf bank_mask:0xf// 00000000D9D4: 7E5602FA FF0118FD
	v_mov_b32_dpp v44, v253 row_shl:8 row_mask:0xf bank_mask:0xf// 00000000D9DC: 7E5802FA FF0108FD
	v_mov_b32_e32 v45, v252                                    // 00000000D9E4: 7E5A03FC
	v_mov_b32_e32 v46, v253                                    // 00000000D9E8: 7E5C03FD
	v_cndmask_b32_e64 v252, v45, v41, s[42:43]                 // 00000000D9EC: D10000FC 00AA532D
	v_cndmask_b32_e64 v254, v45, v42, s[78:79]                 // 00000000D9F4: D10000FE 013A552D
	v_cndmask_b32_e64 v253, v46, v43, s[42:43]                 // 00000000D9FC: D10000FD 00AA572E
	v_cndmask_b32_e64 v255, v46, v44, s[78:79]                 // 00000000DA04: D10000FF 013A592E
	buffer_load_dword v73, v71, s[36:39], 0 offen              // 00000000DA0C: E0501000 80094947
	v_mul_f32_e32 v128, v54, v128                              // 00000000DA14: 0B010136
	v_mul_f32_e32 v129, v54, v129                              // 00000000DA18: 0B030336
	v_mul_f32_e32 v130, v54, v130                              // 00000000DA1C: 0B050536
	v_mul_f32_e32 v131, v54, v131                              // 00000000DA20: 0B070736
	v_mul_f32_e32 v132, v54, v132                              // 00000000DA24: 0B090936
	v_mul_f32_e32 v133, v54, v133                              // 00000000DA28: 0B0B0B36
	v_mul_f32_e32 v134, v54, v134                              // 00000000DA2C: 0B0D0D36
	v_mul_f32_e32 v135, v54, v135                              // 00000000DA30: 0B0F0F36
	v_mul_f32_e32 v136, v54, v136                              // 00000000DA34: 0B111136
	v_mul_f32_e32 v137, v54, v137                              // 00000000DA38: 0B131336
	v_mul_f32_e32 v138, v54, v138                              // 00000000DA3C: 0B151536
	v_mul_f32_e32 v139, v54, v139                              // 00000000DA40: 0B171736
	v_mul_f32_e32 v140, v54, v140                              // 00000000DA44: 0B191936
	v_mul_f32_e32 v141, v54, v141                              // 00000000DA48: 0B1B1B36
	v_mul_f32_e32 v142, v54, v142                              // 00000000DA4C: 0B1D1D36
	v_mul_f32_e32 v143, v54, v143                              // 00000000DA50: 0B1F1F36
	buffer_load_dwordx4 a[48:51], v31, s[16:19], 0 offen       // 00000000DA54: E05C1000 8084301F
	v_mul_f32_dpp v128, v248, v128 quad_perm:[0,0,0,0] row_mask:0xf bank_mask:0xf// 00000000DA5C: 0B0100FA FF0000F8
	v_mul_f32_dpp v129, v248, v129 quad_perm:[1,1,1,1] row_mask:0xf bank_mask:0xf// 00000000DA64: 0B0302FA FF0055F8
	v_mul_f32_dpp v130, v248, v130 quad_perm:[2,2,2,2] row_mask:0xf bank_mask:0xf// 00000000DA6C: 0B0504FA FF00AAF8
	v_mul_f32_dpp v131, v248, v131 quad_perm:[3,3,3,3] row_mask:0xf bank_mask:0xf// 00000000DA74: 0B0706FA FF00FFF8
	v_mul_f32_dpp v132, v249, v132 quad_perm:[0,0,0,0] row_mask:0xf bank_mask:0xf// 00000000DA7C: 0B0908FA FF0000F9
	v_mul_f32_dpp v133, v249, v133 quad_perm:[1,1,1,1] row_mask:0xf bank_mask:0xf// 00000000DA84: 0B0B0AFA FF0055F9
	v_mul_f32_dpp v134, v249, v134 quad_perm:[2,2,2,2] row_mask:0xf bank_mask:0xf// 00000000DA8C: 0B0D0CFA FF00AAF9
	v_mul_f32_dpp v135, v249, v135 quad_perm:[3,3,3,3] row_mask:0xf bank_mask:0xf// 00000000DA94: 0B0F0EFA FF00FFF9
	v_mul_f32_dpp v136, v250, v136 quad_perm:[0,0,0,0] row_mask:0xf bank_mask:0xf// 00000000DA9C: 0B1110FA FF0000FA
	v_mul_f32_dpp v137, v250, v137 quad_perm:[1,1,1,1] row_mask:0xf bank_mask:0xf// 00000000DAA4: 0B1312FA FF0055FA
	v_mul_f32_dpp v138, v250, v138 quad_perm:[2,2,2,2] row_mask:0xf bank_mask:0xf// 00000000DAAC: 0B1514FA FF00AAFA
	v_mul_f32_dpp v139, v250, v139 quad_perm:[3,3,3,3] row_mask:0xf bank_mask:0xf// 00000000DAB4: 0B1716FA FF00FFFA
	v_mul_f32_dpp v140, v251, v140 quad_perm:[0,0,0,0] row_mask:0xf bank_mask:0xf// 00000000DABC: 0B1918FA FF0000FB
	v_mul_f32_dpp v141, v251, v141 quad_perm:[1,1,1,1] row_mask:0xf bank_mask:0xf// 00000000DAC4: 0B1B1AFA FF0055FB
	v_mul_f32_dpp v142, v251, v142 quad_perm:[2,2,2,2] row_mask:0xf bank_mask:0xf// 00000000DACC: 0B1D1CFA FF00AAFB
	v_mul_f32_dpp v143, v251, v143 quad_perm:[3,3,3,3] row_mask:0xf bank_mask:0xf// 00000000DAD4: 0B1F1EFA FF00FFFB
	buffer_load_dwordx4 a[52:55], v31, s[16:19], 0 offen offset:1024// 00000000DADC: E05C1400 8084341F
	s_cmp_le_i32 s90, s89                                      // 00000000DAE4: BF05595A
	s_cbranch_scc1 label_2EAE                                  // 00000000DAE8: BF850073
	v_mov_b32_e32 v69, 0xff800000                              // 00000000DAEC: 7E8A02FF FF800000
	s_mov_b32 s60, s90                                         // 00000000DAF4: BEBC005A
	s_add_u32 s61, s89, 0xff                                   // 00000000DAF8: 803DFF59 000000FF
	v_mov_b32_e32 v41, s61                                     // 00000000DB00: 7E52023D
	v_lshrrev_b32_e32 v240, 4, v0                              // 00000000DB04: 21E00084
	v_mul_i32_i24_e32 v240, 4, v240                            // 00000000DB08: 0DE1E084
	v_add_u32_e32 v240, s60, v240                              // 00000000DB0C: 69E1E03C
	v_and_b32_e32 v42, 15, v0                                  // 00000000DB10: 2654008F
	v_lshrrev_b32_e32 v42, 3, v42                              // 00000000DB14: 20545483
	s_mov_b32 s61, 0                                           // 00000000DB18: BEBD0080
	s_mul_i32 s60, 16, s7                                      // 00000000DB1C: 923C0790
	v_add_u32_e32 v42, s61, v42                                // 00000000DB20: 6854543D
	v_sub_u32_e32 v240, v240, v42                              // 00000000DB24: 6BE055F0
	v_add_u32_e32 v240, s60, v240                              // 00000000DB28: 69E1E03C
	v_add_u32_e32 v241, 1, v240                                // 00000000DB2C: 69E3E081
	v_add_u32_e32 v242, 2, v240                                // 00000000DB30: 69E5E082
	v_add_u32_e32 v243, 3, v240                                // 00000000DB34: 69E7E083
	v_cmp_le_u32_e64 s[40:41], v240, v41                       // 00000000DB38: D0CB0028 000253F0
	v_add_u32_e32 v240, 64, v240                               // 00000000DB40: 69E1E0C0
	s_nop 0                                                    // 00000000DB44: BF800000
	v_cndmask_b32_e64 v128, v69, v128, s[40:41]                // 00000000DB48: D1000080 00A30145
	v_cmp_le_u32_e64 s[40:41], v241, v41                       // 00000000DB50: D0CB0028 000253F1
	v_add_u32_e32 v241, 64, v241                               // 00000000DB58: 69E3E2C0
	s_nop 0                                                    // 00000000DB5C: BF800000
	v_cndmask_b32_e64 v129, v69, v129, s[40:41]                // 00000000DB60: D1000081 00A30345
	v_cmp_le_u32_e64 s[40:41], v242, v41                       // 00000000DB68: D0CB0028 000253F2
	v_add_u32_e32 v242, 64, v242                               // 00000000DB70: 69E5E4C0
	s_nop 0                                                    // 00000000DB74: BF800000
	v_cndmask_b32_e64 v130, v69, v130, s[40:41]                // 00000000DB78: D1000082 00A30545
	v_cmp_le_u32_e64 s[40:41], v243, v41                       // 00000000DB80: D0CB0028 000253F3
	v_add_u32_e32 v243, 64, v243                               // 00000000DB88: 69E7E6C0
	s_nop 0                                                    // 00000000DB8C: BF800000
	v_cndmask_b32_e64 v131, v69, v131, s[40:41]                // 00000000DB90: D1000083 00A30745
	v_cmp_le_u32_e64 s[40:41], v240, v41                       // 00000000DB98: D0CB0028 000253F0
	v_add_u32_e32 v240, 64, v240                               // 00000000DBA0: 69E1E0C0
	s_nop 0                                                    // 00000000DBA4: BF800000
	v_cndmask_b32_e64 v132, v69, v132, s[40:41]                // 00000000DBA8: D1000084 00A30945
	v_cmp_le_u32_e64 s[40:41], v241, v41                       // 00000000DBB0: D0CB0028 000253F1
	v_add_u32_e32 v241, 64, v241                               // 00000000DBB8: 69E3E2C0
	s_nop 0                                                    // 00000000DBBC: BF800000
	v_cndmask_b32_e64 v133, v69, v133, s[40:41]                // 00000000DBC0: D1000085 00A30B45
	v_cmp_le_u32_e64 s[40:41], v242, v41                       // 00000000DBC8: D0CB0028 000253F2
	v_add_u32_e32 v242, 64, v242                               // 00000000DBD0: 69E5E4C0
	s_nop 0                                                    // 00000000DBD4: BF800000
	v_cndmask_b32_e64 v134, v69, v134, s[40:41]                // 00000000DBD8: D1000086 00A30D45
	v_cmp_le_u32_e64 s[40:41], v243, v41                       // 00000000DBE0: D0CB0028 000253F3
	v_add_u32_e32 v243, 64, v243                               // 00000000DBE8: 69E7E6C0
	s_nop 0                                                    // 00000000DBEC: BF800000
	v_cndmask_b32_e64 v135, v69, v135, s[40:41]                // 00000000DBF0: D1000087 00A30F45
	v_cmp_le_u32_e64 s[40:41], v240, v41                       // 00000000DBF8: D0CB0028 000253F0
	v_add_u32_e32 v240, 64, v240                               // 00000000DC00: 69E1E0C0
	s_nop 0                                                    // 00000000DC04: BF800000
	v_cndmask_b32_e64 v136, v69, v136, s[40:41]                // 00000000DC08: D1000088 00A31145
	v_cmp_le_u32_e64 s[40:41], v241, v41                       // 00000000DC10: D0CB0028 000253F1
	v_add_u32_e32 v241, 64, v241                               // 00000000DC18: 69E3E2C0
	s_nop 0                                                    // 00000000DC1C: BF800000
	v_cndmask_b32_e64 v137, v69, v137, s[40:41]                // 00000000DC20: D1000089 00A31345
	v_cmp_le_u32_e64 s[40:41], v242, v41                       // 00000000DC28: D0CB0028 000253F2
	v_add_u32_e32 v242, 64, v242                               // 00000000DC30: 69E5E4C0
	s_nop 0                                                    // 00000000DC34: BF800000
	v_cndmask_b32_e64 v138, v69, v138, s[40:41]                // 00000000DC38: D100008A 00A31545
	v_cmp_le_u32_e64 s[40:41], v243, v41                       // 00000000DC40: D0CB0028 000253F3
	v_add_u32_e32 v243, 64, v243                               // 00000000DC48: 69E7E6C0
	s_nop 0                                                    // 00000000DC4C: BF800000
	v_cndmask_b32_e64 v139, v69, v139, s[40:41]                // 00000000DC50: D100008B 00A31745
	v_cmp_le_u32_e64 s[40:41], v240, v41                       // 00000000DC58: D0CB0028 000253F0
	v_add_u32_e32 v240, 64, v240                               // 00000000DC60: 69E1E0C0
	s_nop 0                                                    // 00000000DC64: BF800000
	v_cndmask_b32_e64 v140, v69, v140, s[40:41]                // 00000000DC68: D100008C 00A31945
	v_cmp_le_u32_e64 s[40:41], v241, v41                       // 00000000DC70: D0CB0028 000253F1
	v_add_u32_e32 v241, 64, v241                               // 00000000DC78: 69E3E2C0
	s_nop 0                                                    // 00000000DC7C: BF800000
	v_cndmask_b32_e64 v141, v69, v141, s[40:41]                // 00000000DC80: D100008D 00A31B45
	v_cmp_le_u32_e64 s[40:41], v242, v41                       // 00000000DC88: D0CB0028 000253F2
	v_add_u32_e32 v242, 64, v242                               // 00000000DC90: 69E5E4C0
	s_nop 0                                                    // 00000000DC94: BF800000
	v_cndmask_b32_e64 v142, v69, v142, s[40:41]                // 00000000DC98: D100008E 00A31D45
	v_cmp_le_u32_e64 s[40:41], v243, v41                       // 00000000DCA0: D0CB0028 000253F3
	v_add_u32_e32 v243, 64, v243                               // 00000000DCA8: 69E7E6C0
	s_nop 0                                                    // 00000000DCAC: BF800000
	v_cndmask_b32_e64 v143, v69, v143, s[40:41]                // 00000000DCB0: D100008F 00A31F45

000000000000dcb8 <label_2EAE>:
	v_mov_b32_e32 v62, v128                                    // 00000000DCB8: 7E7C0380
	v_max3_f32 v62, v128, v129, v62                            // 00000000DCBC: D1D3003E 04FB0380
	v_max3_f32 v62, v130, v131, v62                            // 00000000DCC4: D1D3003E 04FB0782
	v_max3_f32 v62, v132, v133, v62                            // 00000000DCCC: D1D3003E 04FB0B84
	v_max3_f32 v62, v134, v135, v62                            // 00000000DCD4: D1D3003E 04FB0F86
	v_max3_f32 v62, v136, v137, v62                            // 00000000DCDC: D1D3003E 04FB1388
	v_max3_f32 v62, v138, v139, v62                            // 00000000DCE4: D1D3003E 04FB178A
	v_max3_f32 v62, v140, v141, v62                            // 00000000DCEC: D1D3003E 04FB1B8C
	v_max3_f32 v62, v142, v143, v62                            // 00000000DCF4: D1D3003E 04FB1F8E
	ds_write_b32 v11, v62 offset:16896                         // 00000000DCFC: D81A4200 00003E0B
	buffer_load_dwordx4 a[56:59], v32, s[16:19], 0 offen       // 00000000DD04: E05C1000 80843820
	v_mul_u32_u24_dpp v41, v20, v68 row_newbcast:1 row_mask:0xf bank_mask:0xf// 00000000DD0C: 105288FA FF015114
	v_mul_u32_u24_dpp v42, v20, v68 row_newbcast:5 row_mask:0xf bank_mask:0xf// 00000000DD14: 105488FA FF015514
	v_mul_u32_u24_dpp v43, v20, v68 row_newbcast:9 row_mask:0xf bank_mask:0xf// 00000000DD1C: 105688FA FF015914
	v_mul_u32_u24_dpp v44, v20, v68 row_newbcast:13 row_mask:0xf bank_mask:0xf// 00000000DD24: 105888FA FF015D14
	v_add_u32_e32 v37, v41, v7                                 // 00000000DD2C: 684A0F29
	v_add_u32_e32 v38, v42, v7                                 // 00000000DD30: 684C0F2A
	v_add_u32_e32 v39, v43, v7                                 // 00000000DD34: 684E0F2B
	v_add_u32_e32 v40, v44, v7                                 // 00000000DD38: 68500F2C
	v_mul_f32_e32 v224, v63, v224                              // 00000000DD3C: 0BC1C13F
	v_mul_f32_e32 v225, v63, v225                              // 00000000DD40: 0BC3C33F
	v_mul_f32_e32 v226, v63, v226                              // 00000000DD44: 0BC5C53F
	v_mul_f32_e32 v227, v63, v227                              // 00000000DD48: 0BC7C73F
	v_mul_f32_e32 v228, v63, v228                              // 00000000DD4C: 0BC9C93F
	v_mul_f32_e32 v229, v63, v229                              // 00000000DD50: 0BCBCB3F
	v_mul_f32_e32 v230, v63, v230                              // 00000000DD54: 0BCDCD3F
	v_mul_f32_e32 v231, v63, v231                              // 00000000DD58: 0BCFCF3F
	s_waitcnt lgkmcnt(0)                                       // 00000000DD5C: BF8CC07F
	s_barrier                                                  // 00000000DD60: BF8A0000
	ds_read_b32 v80, v10 offset:16896                          // 00000000DD64: D86C4200 5000000A
	ds_read_b32 v81, v10 offset:16960                          // 00000000DD6C: D86C4240 5100000A
	ds_read_b32 v82, v10 offset:17024                          // 00000000DD74: D86C4280 5200000A
	ds_read_b32 v83, v10 offset:17088                          // 00000000DD7C: D86C42C0 5300000A
	ds_read_b32 v84, v10 offset:17152                          // 00000000DD84: D86C4300 5400000A
	ds_read_b32 v85, v10 offset:17216                          // 00000000DD8C: D86C4340 5500000A
	ds_read_b32 v86, v10 offset:17280                          // 00000000DD94: D86C4380 5600000A
	ds_read_b32 v87, v10 offset:17344                          // 00000000DD9C: D86C43C0 5700000A
	ds_read_b32 v88, v10 offset:17408                          // 00000000DDA4: D86C4400 5800000A
	ds_read_b32 v89, v10 offset:17472                          // 00000000DDAC: D86C4440 5900000A
	ds_read_b32 v90, v10 offset:17536                          // 00000000DDB4: D86C4480 5A00000A
	ds_read_b32 v91, v10 offset:17600                          // 00000000DDBC: D86C44C0 5B00000A
	ds_read_b32 v92, v10 offset:17664                          // 00000000DDC4: D86C4500 5C00000A
	ds_read_b32 v93, v10 offset:17728                          // 00000000DDCC: D86C4540 5D00000A
	ds_read_b32 v94, v10 offset:17792                          // 00000000DDD4: D86C4580 5E00000A
	ds_read_b32 v95, v10 offset:17856                          // 00000000DDDC: D86C45C0 5F00000A
	buffer_load_dwordx4 a[60:63], v32, s[16:19], 0 offen offset:1024// 00000000DDE4: E05C1400 80843C20
	v_mul_f32_e32 v192, v58, v192                              // 00000000DDEC: 0B81813A
	v_mul_f32_e32 v193, v58, v193                              // 00000000DDF0: 0B83833A
	v_mul_f32_e32 v194, v58, v194                              // 00000000DDF4: 0B85853A
	v_mul_f32_e32 v195, v58, v195                              // 00000000DDF8: 0B87873A
	v_mul_f32_e32 v196, v58, v196                              // 00000000DDFC: 0B89893A
	v_mul_f32_e32 v197, v58, v197                              // 00000000DE00: 0B8B8B3A
	v_mul_f32_e32 v198, v58, v198                              // 00000000DE04: 0B8D8D3A
	v_mul_f32_e32 v199, v58, v199                              // 00000000DE08: 0B8F8F3A
	s_waitcnt lgkmcnt(0)                                       // 00000000DE0C: BF8CC07F
	v_max3_f32 v62, v80, v81, v62                              // 00000000DE10: D1D3003E 04FAA350
	v_max3_f32 v62, v82, v83, v62                              // 00000000DE18: D1D3003E 04FAA752
	v_max3_f32 v62, v84, v85, v62                              // 00000000DE20: D1D3003E 04FAAB54
	v_max3_f32 v62, v86, v87, v62                              // 00000000DE28: D1D3003E 04FAAF56
	v_max3_f32 v62, v88, v89, v62                              // 00000000DE30: D1D3003E 04FAB358
	v_max3_f32 v62, v90, v91, v62                              // 00000000DE38: D1D3003E 04FAB75A
	v_max3_f32 v62, v92, v93, v62                              // 00000000DE40: D1D3003E 04FABB5C
	v_max3_f32 v62, v94, v95, v62                              // 00000000DE48: D1D3003E 04FABF5E
	buffer_load_dwordx4 a[96:99], v37, s[20:23], 0 offen       // 00000000DE50: E05C1000 80856025
	v_mov_b32_e32 v41, 0xff800000                              // 00000000DE58: 7E5202FF FF800000
	v_cmp_eq_u32_e64 s[40:41], v41, v14                        // 00000000DE60: D0CA0028 00021D29
	s_nop 1                                                    // 00000000DE68: BF800001
	v_max_f32_e32 v18, v62, v14                                // 00000000DE6C: 16241D3E
	v_mul_f32_e32 v67, s64, v18                                // 00000000DE70: 0A862440
	v_fma_f32 v128, v128, s64, -v67                            // 00000000DE74: D1CB0080 850C8180
	v_fma_f32 v129, v129, s64, -v67                            // 00000000DE7C: D1CB0081 850C8181
	v_fma_f32 v130, v130, s64, -v67                            // 00000000DE84: D1CB0082 850C8182
	v_fma_f32 v131, v131, s64, -v67                            // 00000000DE8C: D1CB0083 850C8183
	v_fma_f32 v132, v132, s64, -v67                            // 00000000DE94: D1CB0084 850C8184
	v_fma_f32 v133, v133, s64, -v67                            // 00000000DE9C: D1CB0085 850C8185
	v_fma_f32 v134, v134, s64, -v67                            // 00000000DEA4: D1CB0086 850C8186
	v_fma_f32 v135, v135, s64, -v67                            // 00000000DEAC: D1CB0087 850C8187
	v_fma_f32 v136, v136, s64, -v67                            // 00000000DEB4: D1CB0088 850C8188
	v_fma_f32 v137, v137, s64, -v67                            // 00000000DEBC: D1CB0089 850C8189
	v_fma_f32 v138, v138, s64, -v67                            // 00000000DEC4: D1CB008A 850C818A
	v_fma_f32 v139, v139, s64, -v67                            // 00000000DECC: D1CB008B 850C818B
	v_fma_f32 v140, v140, s64, -v67                            // 00000000DED4: D1CB008C 850C818C
	v_fma_f32 v141, v141, s64, -v67                            // 00000000DEDC: D1CB008D 850C818D
	v_fma_f32 v142, v142, s64, -v67                            // 00000000DEE4: D1CB008E 850C818E
	v_fma_f32 v143, v143, s64, -v67                            // 00000000DEEC: D1CB008F 850C818F
	buffer_load_dwordx4 a[100:103], v38, s[20:23], 0 offen     // 00000000DEF4: E05C1000 80856426
	v_exp_f32_e32 v128, v128                                   // 00000000DEFC: 7F004180
	v_exp_f32_e32 v129, v129                                   // 00000000DF00: 7F024181
	v_exp_f32_e32 v130, v130                                   // 00000000DF04: 7F044182
	v_exp_f32_e32 v131, v131                                   // 00000000DF08: 7F064183
	v_exp_f32_e32 v132, v132                                   // 00000000DF0C: 7F084184
	v_exp_f32_e32 v133, v133                                   // 00000000DF10: 7F0A4185
	v_exp_f32_e32 v134, v134                                   // 00000000DF14: 7F0C4186
	v_exp_f32_e32 v135, v135                                   // 00000000DF18: 7F0E4187
	v_exp_f32_e32 v136, v136                                   // 00000000DF1C: 7F104188
	v_exp_f32_e32 v137, v137                                   // 00000000DF20: 7F124189
	v_exp_f32_e32 v138, v138                                   // 00000000DF24: 7F14418A
	v_exp_f32_e32 v139, v139                                   // 00000000DF28: 7F16418B
	v_exp_f32_e32 v140, v140                                   // 00000000DF2C: 7F18418C
	v_exp_f32_e32 v141, v141                                   // 00000000DF30: 7F1A418D
	v_exp_f32_e32 v142, v142                                   // 00000000DF34: 7F1C418E
	v_exp_f32_e32 v143, v143                                   // 00000000DF38: 7F1E418F
	buffer_load_dwordx4 a[104:107], v39, s[20:23], 0 offen     // 00000000DF3C: E05C1000 80856827
	v_mul_f32_dpp v240, v252, v128 quad_perm:[0,0,0,0] row_mask:0xf bank_mask:0xf// 00000000DF44: 0BE100FA FF0000FC
	v_mul_f32_dpp v241, v252, v129 quad_perm:[1,1,1,1] row_mask:0xf bank_mask:0xf// 00000000DF4C: 0BE302FA FF0055FC
	v_mul_f32_dpp v242, v252, v130 quad_perm:[2,2,2,2] row_mask:0xf bank_mask:0xf// 00000000DF54: 0BE504FA FF00AAFC
	v_mul_f32_dpp v243, v252, v131 quad_perm:[3,3,3,3] row_mask:0xf bank_mask:0xf// 00000000DF5C: 0BE706FA FF00FFFC
	v_mul_f32_dpp v244, v253, v132 quad_perm:[0,0,0,0] row_mask:0xf bank_mask:0xf// 00000000DF64: 0BE908FA FF0000FD
	v_mul_f32_dpp v245, v253, v133 quad_perm:[1,1,1,1] row_mask:0xf bank_mask:0xf// 00000000DF6C: 0BEB0AFA FF0055FD
	v_mul_f32_dpp v246, v253, v134 quad_perm:[2,2,2,2] row_mask:0xf bank_mask:0xf// 00000000DF74: 0BED0CFA FF00AAFD
	v_mul_f32_dpp v247, v253, v135 quad_perm:[3,3,3,3] row_mask:0xf bank_mask:0xf// 00000000DF7C: 0BEF0EFA FF00FFFD
	v_mul_f32_dpp v248, v254, v136 quad_perm:[0,0,0,0] row_mask:0xf bank_mask:0xf// 00000000DF84: 0BF110FA FF0000FE
	v_mul_f32_dpp v249, v254, v137 quad_perm:[1,1,1,1] row_mask:0xf bank_mask:0xf// 00000000DF8C: 0BF312FA FF0055FE
	v_mul_f32_dpp v250, v254, v138 quad_perm:[2,2,2,2] row_mask:0xf bank_mask:0xf// 00000000DF94: 0BF514FA FF00AAFE
	v_mul_f32_dpp v251, v254, v139 quad_perm:[3,3,3,3] row_mask:0xf bank_mask:0xf// 00000000DF9C: 0BF716FA FF00FFFE
	v_mul_f32_dpp v252, v255, v140 quad_perm:[0,0,0,0] row_mask:0xf bank_mask:0xf// 00000000DFA4: 0BF918FA FF0000FF
	v_mul_f32_dpp v253, v255, v141 quad_perm:[1,1,1,1] row_mask:0xf bank_mask:0xf// 00000000DFAC: 0BFB1AFA FF0055FF
	v_mul_f32_dpp v254, v255, v142 quad_perm:[2,2,2,2] row_mask:0xf bank_mask:0xf// 00000000DFB4: 0BFD1CFA FF00AAFF
	v_mul_f32_dpp v255, v255, v143 quad_perm:[3,3,3,3] row_mask:0xf bank_mask:0xf// 00000000DFBC: 0BFF1EFA FF00FFFF
	v_mov_b32_e32 v62, 0x358637bd                              // 00000000DFC4: 7E7C02FF 358637BD
	v_max3_f32 v62, |v240|, |v241|, v62                        // 00000000DFCC: D1D3033E 04FBE3F0
	v_max3_f32 v62, |v242|, |v243|, v62                        // 00000000DFD4: D1D3033E 04FBE7F2
	v_max3_f32 v62, |v244|, |v245|, v62                        // 00000000DFDC: D1D3033E 04FBEBF4
	v_max3_f32 v62, |v246|, |v247|, v62                        // 00000000DFE4: D1D3033E 04FBEFF6
	v_max3_f32 v62, |v248|, |v249|, v62                        // 00000000DFEC: D1D3033E 04FBF3F8
	v_max3_f32 v62, |v250|, |v251|, v62                        // 00000000DFF4: D1D3033E 04FBF7FA
	v_max3_f32 v62, |v252|, |v253|, v62                        // 00000000DFFC: D1D3033E 04FBFBFC
	v_max3_f32 v62, |v254|, |v255|, v62                        // 00000000E004: D1D3033E 04FBFFFE
	buffer_load_dwordx4 a[108:111], v40, s[20:23], 0 offen     // 00000000E00C: E05C1000 80856C28
	ds_write_b32 v11, v62 offset:20992                         // 00000000E014: D81A5200 00003E0B
	v_sub_f32_e32 v63, v14, v18                                // 00000000E01C: 047E250E
	v_cndmask_b32_e64 v63, v63, 0, s[40:41]                    // 00000000E020: D100003F 00A1013F
	v_mov_b32_e32 v14, v18                                     // 00000000E028: 7E1C0312
	v_mul_f32_e32 v63, s64, v63                                // 00000000E02C: 0A7E7E40
	v_exp_f32_e32 v63, v63                                     // 00000000E030: 7E7E413F
	s_waitcnt lgkmcnt(0)                                       // 00000000E034: BF8CC07F
	s_barrier                                                  // 00000000E038: BF8A0000
	ds_read_b32 v80, v10 offset:20992                          // 00000000E03C: D86C5200 5000000A
	ds_read_b32 v81, v10 offset:21056                          // 00000000E044: D86C5240 5100000A
	ds_read_b32 v82, v10 offset:21120                          // 00000000E04C: D86C5280 5200000A
	ds_read_b32 v83, v10 offset:21184                          // 00000000E054: D86C52C0 5300000A
	ds_read_b32 v84, v10 offset:21248                          // 00000000E05C: D86C5300 5400000A
	ds_read_b32 v85, v10 offset:21312                          // 00000000E064: D86C5340 5500000A
	ds_read_b32 v86, v10 offset:21376                          // 00000000E06C: D86C5380 5600000A
	ds_read_b32 v87, v10 offset:21440                          // 00000000E074: D86C53C0 5700000A
	ds_read_b32 v88, v10 offset:21504                          // 00000000E07C: D86C5400 5800000A
	ds_read_b32 v89, v10 offset:21568                          // 00000000E084: D86C5440 5900000A
	ds_read_b32 v90, v10 offset:21632                          // 00000000E08C: D86C5480 5A00000A
	ds_read_b32 v91, v10 offset:21696                          // 00000000E094: D86C54C0 5B00000A
	ds_read_b32 v92, v10 offset:21760                          // 00000000E09C: D86C5500 5C00000A
	ds_read_b32 v93, v10 offset:21824                          // 00000000E0A4: D86C5540 5D00000A
	ds_read_b32 v94, v10 offset:21888                          // 00000000E0AC: D86C5580 5E00000A
	ds_read_b32 v95, v10 offset:21952                          // 00000000E0B4: D86C55C0 5F00000A
	v_mul_f32_e32 v47, v63, v47                                // 00000000E0BC: 0A5E5F3F
	v_mov_b32_e32 v18, v128                                    // 00000000E0C0: 7E240380
	v_add_f32_e32 v18, v129, v18                               // 00000000E0C4: 02242581
	v_add_f32_e32 v18, v130, v18                               // 00000000E0C8: 02242582
	v_add_f32_e32 v18, v131, v18                               // 00000000E0CC: 02242583
	v_add_f32_e32 v18, v132, v18                               // 00000000E0D0: 02242584
	v_add_f32_e32 v18, v133, v18                               // 00000000E0D4: 02242585
	v_add_f32_e32 v18, v134, v18                               // 00000000E0D8: 02242586
	v_add_f32_e32 v18, v135, v18                               // 00000000E0DC: 02242587
	v_add_f32_e32 v18, v136, v18                               // 00000000E0E0: 02242588
	v_add_f32_e32 v18, v137, v18                               // 00000000E0E4: 02242589
	v_add_f32_e32 v18, v138, v18                               // 00000000E0E8: 0224258A
	v_add_f32_e32 v18, v139, v18                               // 00000000E0EC: 0224258B
	v_add_f32_e32 v18, v140, v18                               // 00000000E0F0: 0224258C
	v_add_f32_e32 v18, v141, v18                               // 00000000E0F4: 0224258D
	v_add_f32_e32 v18, v142, v18                               // 00000000E0F8: 0224258E
	v_add_f32_e32 v18, v143, v18                               // 00000000E0FC: 0224258F
	v_add_f32_e32 v47, v18, v47                                // 00000000E100: 025E5F12
	s_waitcnt lgkmcnt(0)                                       // 00000000E104: BF8CC07F
	v_max3_f32 v62, |v80|, |v81|, v62                          // 00000000E108: D1D3033E 04FAA350
	v_max3_f32 v62, |v82|, |v83|, v62                          // 00000000E110: D1D3033E 04FAA752
	v_max3_f32 v62, |v84|, |v85|, v62                          // 00000000E118: D1D3033E 04FAAB54
	v_max3_f32 v62, |v86|, |v87|, v62                          // 00000000E120: D1D3033E 04FAAF56
	v_max3_f32 v62, |v88|, |v89|, v62                          // 00000000E128: D1D3033E 04FAB358
	v_max3_f32 v62, |v90|, |v91|, v62                          // 00000000E130: D1D3033E 04FAB75A
	v_max3_f32 v62, |v92|, |v93|, v62                          // 00000000E138: D1D3033E 04FABB5C
	v_max3_f32 v62, |v94|, |v95|, v62                          // 00000000E140: D1D3033E 04FABF5E
	s_nop 2                                                    // 00000000E148: BF800002
	v_rcp_f32_e32 v62, v62                                     // 00000000E14C: 7E7C453E
	s_nop 1                                                    // 00000000E150: BF800001
	v_mul_f32_e32 v62, 0x43e00000, v62                         // 00000000E154: 0A7C7CFF 43E00000
	v_mul_f32_e32 v128, v62, v240                              // 00000000E15C: 0B01E13E
	v_mul_f32_e32 v129, v62, v241                              // 00000000E160: 0B03E33E
	v_mul_f32_e32 v130, v62, v242                              // 00000000E164: 0B05E53E
	v_mul_f32_e32 v131, v62, v243                              // 00000000E168: 0B07E73E
	v_mul_f32_e32 v132, v62, v244                              // 00000000E16C: 0B09E93E
	v_mul_f32_e32 v133, v62, v245                              // 00000000E170: 0B0BEB3E
	v_mul_f32_e32 v134, v62, v246                              // 00000000E174: 0B0DED3E
	v_mul_f32_e32 v135, v62, v247                              // 00000000E178: 0B0FEF3E
	v_mul_f32_e32 v136, v62, v248                              // 00000000E17C: 0B11F13E
	v_mul_f32_e32 v137, v62, v249                              // 00000000E180: 0B13F33E
	v_mul_f32_e32 v138, v62, v250                              // 00000000E184: 0B15F53E
	v_mul_f32_e32 v139, v62, v251                              // 00000000E188: 0B17F73E
	v_mul_f32_e32 v140, v62, v252                              // 00000000E18C: 0B19F93E
	v_mul_f32_e32 v141, v62, v253                              // 00000000E190: 0B1BFB3E
	v_mul_f32_e32 v142, v62, v254                              // 00000000E194: 0B1DFD3E
	v_mul_f32_e32 v143, v62, v255                              // 00000000E198: 0B1FFF3E
	v_cvt_pk_fp8_f32 v128, v128, v129                          // 00000000E19C: D2A20080 00030380
	v_cvt_pk_fp8_f32 v128, v130, v131 op_sel:[0,0,1]           // 00000000E1A4: D2A24080 00030782
	v_cvt_pk_fp8_f32 v129, v132, v133                          // 00000000E1AC: D2A20081 00030B84
	v_cvt_pk_fp8_f32 v129, v134, v135 op_sel:[0,0,1]           // 00000000E1B4: D2A24081 00030F86
	v_cvt_pk_fp8_f32 v130, v136, v137                          // 00000000E1BC: D2A20082 00031388
	v_cvt_pk_fp8_f32 v130, v138, v139 op_sel:[0,0,1]           // 00000000E1C4: D2A24082 0003178A
	v_cvt_pk_fp8_f32 v131, v140, v141                          // 00000000E1CC: D2A20083 00031B8C
	v_cvt_pk_fp8_f32 v131, v142, v143 op_sel:[0,0,1]           // 00000000E1D4: D2A24083 00031F8E
	ds_write_b32 v13, v128 offset:25088                        // 00000000E1DC: D81A6200 0000800D
	ds_write_b32 v13, v129 offset:26112                        // 00000000E1E4: D81A6600 0000810D
	ds_write_b32 v13, v130 offset:27136                        // 00000000E1EC: D81A6A00 0000820D
	ds_write_b32 v13, v131 offset:28160                        // 00000000E1F4: D81A6E00 0000830D
	v_add_f32_e32 v224, v224, v192                             // 00000000E1FC: 03C181E0
	v_add_f32_e32 v225, v225, v193                             // 00000000E200: 03C383E1
	v_add_f32_e32 v226, v226, v194                             // 00000000E204: 03C585E2
	v_add_f32_e32 v227, v227, v195                             // 00000000E208: 03C787E3
	v_add_f32_e32 v228, v228, v196                             // 00000000E20C: 03C989E4
	v_add_f32_e32 v229, v229, v197                             // 00000000E210: 03CB8BE5
	v_add_f32_e32 v230, v230, v198                             // 00000000E214: 03CD8DE6
	v_add_f32_e32 v231, v231, v199                             // 00000000E218: 03CF8FE7
	v_rcp_f32_e32 v58, v62                                     // 00000000E21C: 7E74453E
	s_waitcnt lgkmcnt(0)                                       // 00000000E220: BF8CC07F
	s_barrier                                                  // 00000000E224: BF8A0000
	ds_read_b64 v[128:129], v12 offset:25088                   // 00000000E228: D8EC6200 8000000C
	ds_read_b64 v[130:131], v12 offset:25216                   // 00000000E230: D8EC6280 8200000C
	ds_read_b64 v[132:133], v12 offset:26112                   // 00000000E238: D8EC6600 8400000C
	ds_read_b64 v[134:135], v12 offset:26240                   // 00000000E240: D8EC6680 8600000C
	ds_read_b64 v[136:137], v12 offset:27136                   // 00000000E248: D8EC6A00 8800000C
	ds_read_b64 v[138:139], v12 offset:27264                   // 00000000E250: D8EC6A80 8A00000C
	ds_read_b64 v[140:141], v12 offset:28160                   // 00000000E258: D8EC6E00 8C00000C
	ds_read_b64 v[142:143], v12 offset:28288                   // 00000000E260: D8EC6E80 8E00000C
	v_mov_b32_dpp v41, v52 row_shr:4 row_mask:0xf bank_mask:0xf// 00000000E268: 7E5202FA FF011434
	v_mov_b32_dpp v42, v52 row_shl:4 row_mask:0xf bank_mask:0xf// 00000000E270: 7E5402FA FF010434
	v_cndmask_b32_e64 v248, v52, v41, s[44:45]                 // 00000000E278: D10000F8 00B25334
	v_cndmask_b32_e64 v249, v42, v52, s[44:45]                 // 00000000E280: D10000F9 00B2692A
	v_mov_b32_dpp v41, v248 row_shr:8 row_mask:0xf bank_mask:0xf// 00000000E288: 7E5202FA FF0118F8
	v_mov_b32_dpp v42, v248 row_shl:8 row_mask:0xf bank_mask:0xf// 00000000E290: 7E5402FA FF0108F8
	v_mov_b32_dpp v43, v249 row_shr:8 row_mask:0xf bank_mask:0xf// 00000000E298: 7E5602FA FF0118F9
	v_mov_b32_dpp v44, v249 row_shl:8 row_mask:0xf bank_mask:0xf// 00000000E2A0: 7E5802FA FF0108F9
	v_mov_b32_e32 v45, v248                                    // 00000000E2A8: 7E5A03F8
	v_mov_b32_e32 v46, v249                                    // 00000000E2AC: 7E5C03F9
	v_cndmask_b32_e64 v248, v45, v41, s[42:43]                 // 00000000E2B0: D10000F8 00AA532D
	v_cndmask_b32_e64 v250, v45, v42, s[78:79]                 // 00000000E2B8: D10000FA 013A552D
	v_cndmask_b32_e64 v249, v46, v43, s[42:43]                 // 00000000E2C0: D10000F9 00AA572E
	v_cndmask_b32_e64 v251, v46, v44, s[78:79]                 // 00000000E2C8: D10000FB 013A592E
	v_mov_b32_dpp v41, v72 row_shr:4 row_mask:0xf bank_mask:0xf// 00000000E2D0: 7E5202FA FF011448
	v_mov_b32_dpp v42, v72 row_shl:4 row_mask:0xf bank_mask:0xf// 00000000E2D8: 7E5402FA FF010448
	v_cndmask_b32_e64 v252, v72, v41, s[44:45]                 // 00000000E2E0: D10000FC 00B25348
	v_cndmask_b32_e64 v253, v42, v72, s[44:45]                 // 00000000E2E8: D10000FD 00B2912A
	v_mov_b32_dpp v41, v252 row_shr:8 row_mask:0xf bank_mask:0xf// 00000000E2F0: 7E5202FA FF0118FC
	v_mov_b32_dpp v42, v252 row_shl:8 row_mask:0xf bank_mask:0xf// 00000000E2F8: 7E5402FA FF0108FC
	v_mov_b32_dpp v43, v253 row_shr:8 row_mask:0xf bank_mask:0xf// 00000000E300: 7E5602FA FF0118FD
	v_mov_b32_dpp v44, v253 row_shl:8 row_mask:0xf bank_mask:0xf// 00000000E308: 7E5802FA FF0108FD
	v_mov_b32_e32 v45, v252                                    // 00000000E310: 7E5A03FC
	v_mov_b32_e32 v46, v253                                    // 00000000E314: 7E5C03FD
	v_cndmask_b32_e64 v252, v45, v41, s[42:43]                 // 00000000E318: D10000FC 00AA532D
	v_cndmask_b32_e64 v254, v45, v42, s[78:79]                 // 00000000E320: D10000FE 013A552D
	v_cndmask_b32_e64 v253, v46, v43, s[42:43]                 // 00000000E328: D10000FD 00AA572E
	v_cndmask_b32_e64 v255, v46, v44, s[78:79]                 // 00000000E330: D10000FF 013A592E
	v_mul_f32_e32 v144, v55, v144                              // 00000000E338: 0B212137
	v_mul_f32_e32 v145, v55, v145                              // 00000000E33C: 0B232337
	v_mul_f32_e32 v146, v55, v146                              // 00000000E340: 0B252537
	v_mul_f32_e32 v147, v55, v147                              // 00000000E344: 0B272737
	v_mul_f32_e32 v148, v55, v148                              // 00000000E348: 0B292937
	v_mul_f32_e32 v149, v55, v149                              // 00000000E34C: 0B2B2B37
	v_mul_f32_e32 v150, v55, v150                              // 00000000E350: 0B2D2D37
	v_mul_f32_e32 v151, v55, v151                              // 00000000E354: 0B2F2F37
	v_mul_f32_e32 v152, v55, v152                              // 00000000E358: 0B313137
	v_mul_f32_e32 v153, v55, v153                              // 00000000E35C: 0B333337
	v_mul_f32_e32 v154, v55, v154                              // 00000000E360: 0B353537
	v_mul_f32_e32 v155, v55, v155                              // 00000000E364: 0B373737
	v_mul_f32_e32 v156, v55, v156                              // 00000000E368: 0B393937
	v_mul_f32_e32 v157, v55, v157                              // 00000000E36C: 0B3B3B37
	v_mul_f32_e32 v158, v55, v158                              // 00000000E370: 0B3D3D37
	v_mul_f32_e32 v159, v55, v159                              // 00000000E374: 0B3F3F37
	v_mul_f32_dpp v144, v248, v144 quad_perm:[0,0,0,0] row_mask:0xf bank_mask:0xf// 00000000E378: 0B2120FA FF0000F8
	v_mul_f32_dpp v145, v248, v145 quad_perm:[1,1,1,1] row_mask:0xf bank_mask:0xf// 00000000E380: 0B2322FA FF0055F8
	v_mul_f32_dpp v146, v248, v146 quad_perm:[2,2,2,2] row_mask:0xf bank_mask:0xf// 00000000E388: 0B2524FA FF00AAF8
	v_mul_f32_dpp v147, v248, v147 quad_perm:[3,3,3,3] row_mask:0xf bank_mask:0xf// 00000000E390: 0B2726FA FF00FFF8
	v_mul_f32_dpp v148, v249, v148 quad_perm:[0,0,0,0] row_mask:0xf bank_mask:0xf// 00000000E398: 0B2928FA FF0000F9
	v_mul_f32_dpp v149, v249, v149 quad_perm:[1,1,1,1] row_mask:0xf bank_mask:0xf// 00000000E3A0: 0B2B2AFA FF0055F9
	v_mul_f32_dpp v150, v249, v150 quad_perm:[2,2,2,2] row_mask:0xf bank_mask:0xf// 00000000E3A8: 0B2D2CFA FF00AAF9
	v_mul_f32_dpp v151, v249, v151 quad_perm:[3,3,3,3] row_mask:0xf bank_mask:0xf// 00000000E3B0: 0B2F2EFA FF00FFF9
	v_mul_f32_dpp v152, v250, v152 quad_perm:[0,0,0,0] row_mask:0xf bank_mask:0xf// 00000000E3B8: 0B3130FA FF0000FA
	v_mul_f32_dpp v153, v250, v153 quad_perm:[1,1,1,1] row_mask:0xf bank_mask:0xf// 00000000E3C0: 0B3332FA FF0055FA
	v_mul_f32_dpp v154, v250, v154 quad_perm:[2,2,2,2] row_mask:0xf bank_mask:0xf// 00000000E3C8: 0B3534FA FF00AAFA
	v_mul_f32_dpp v155, v250, v155 quad_perm:[3,3,3,3] row_mask:0xf bank_mask:0xf// 00000000E3D0: 0B3736FA FF00FFFA
	v_mul_f32_dpp v156, v251, v156 quad_perm:[0,0,0,0] row_mask:0xf bank_mask:0xf// 00000000E3D8: 0B3938FA FF0000FB
	v_mul_f32_dpp v157, v251, v157 quad_perm:[1,1,1,1] row_mask:0xf bank_mask:0xf// 00000000E3E0: 0B3B3AFA FF0055FB
	v_mul_f32_dpp v158, v251, v158 quad_perm:[2,2,2,2] row_mask:0xf bank_mask:0xf// 00000000E3E8: 0B3D3CFA FF00AAFB
	v_mul_f32_dpp v159, v251, v159 quad_perm:[3,3,3,3] row_mask:0xf bank_mask:0xf// 00000000E3F0: 0B3F3EFA FF00FFFB
	s_cmp_le_i32 s90, s89                                      // 00000000E3F8: BF05595A
	s_cbranch_scc1 label_30F3                                  // 00000000E3FC: BF850073
	v_mov_b32_e32 v69, 0xff800000                              // 00000000E400: 7E8A02FF FF800000
	s_mov_b32 s60, s90                                         // 00000000E408: BEBC005A
	s_add_u32 s61, s89, 0xff                                   // 00000000E40C: 803DFF59 000000FF
	v_mov_b32_e32 v41, s61                                     // 00000000E414: 7E52023D
	v_lshrrev_b32_e32 v240, 4, v0                              // 00000000E418: 21E00084
	v_mul_i32_i24_e32 v240, 4, v240                            // 00000000E41C: 0DE1E084
	v_add_u32_e32 v240, s60, v240                              // 00000000E420: 69E1E03C
	v_and_b32_e32 v42, 15, v0                                  // 00000000E424: 2654008F
	v_lshrrev_b32_e32 v42, 3, v42                              // 00000000E428: 20545483
	s_mov_b32 s61, 2                                           // 00000000E42C: BEBD0082
	s_mul_i32 s60, 16, s7                                      // 00000000E430: 923C0790
	v_add_u32_e32 v42, s61, v42                                // 00000000E434: 6854543D
	v_sub_u32_e32 v240, v240, v42                              // 00000000E438: 6BE055F0
	v_add_u32_e32 v240, s60, v240                              // 00000000E43C: 69E1E03C
	v_add_u32_e32 v241, 1, v240                                // 00000000E440: 69E3E081
	v_add_u32_e32 v242, 2, v240                                // 00000000E444: 69E5E082
	v_add_u32_e32 v243, 3, v240                                // 00000000E448: 69E7E083
	v_cmp_le_u32_e64 s[40:41], v240, v41                       // 00000000E44C: D0CB0028 000253F0
	v_add_u32_e32 v240, 64, v240                               // 00000000E454: 69E1E0C0
	s_nop 0                                                    // 00000000E458: BF800000
	v_cndmask_b32_e64 v144, v69, v144, s[40:41]                // 00000000E45C: D1000090 00A32145
	v_cmp_le_u32_e64 s[40:41], v241, v41                       // 00000000E464: D0CB0028 000253F1
	v_add_u32_e32 v241, 64, v241                               // 00000000E46C: 69E3E2C0
	s_nop 0                                                    // 00000000E470: BF800000
	v_cndmask_b32_e64 v145, v69, v145, s[40:41]                // 00000000E474: D1000091 00A32345
	v_cmp_le_u32_e64 s[40:41], v242, v41                       // 00000000E47C: D0CB0028 000253F2
	v_add_u32_e32 v242, 64, v242                               // 00000000E484: 69E5E4C0
	s_nop 0                                                    // 00000000E488: BF800000
	v_cndmask_b32_e64 v146, v69, v146, s[40:41]                // 00000000E48C: D1000092 00A32545
	v_cmp_le_u32_e64 s[40:41], v243, v41                       // 00000000E494: D0CB0028 000253F3
	v_add_u32_e32 v243, 64, v243                               // 00000000E49C: 69E7E6C0
	s_nop 0                                                    // 00000000E4A0: BF800000
	v_cndmask_b32_e64 v147, v69, v147, s[40:41]                // 00000000E4A4: D1000093 00A32745
	v_cmp_le_u32_e64 s[40:41], v240, v41                       // 00000000E4AC: D0CB0028 000253F0
	v_add_u32_e32 v240, 64, v240                               // 00000000E4B4: 69E1E0C0
	s_nop 0                                                    // 00000000E4B8: BF800000
	v_cndmask_b32_e64 v148, v69, v148, s[40:41]                // 00000000E4BC: D1000094 00A32945
	v_cmp_le_u32_e64 s[40:41], v241, v41                       // 00000000E4C4: D0CB0028 000253F1
	v_add_u32_e32 v241, 64, v241                               // 00000000E4CC: 69E3E2C0
	s_nop 0                                                    // 00000000E4D0: BF800000
	v_cndmask_b32_e64 v149, v69, v149, s[40:41]                // 00000000E4D4: D1000095 00A32B45
	v_cmp_le_u32_e64 s[40:41], v242, v41                       // 00000000E4DC: D0CB0028 000253F2
	v_add_u32_e32 v242, 64, v242                               // 00000000E4E4: 69E5E4C0
	s_nop 0                                                    // 00000000E4E8: BF800000
	v_cndmask_b32_e64 v150, v69, v150, s[40:41]                // 00000000E4EC: D1000096 00A32D45
	v_cmp_le_u32_e64 s[40:41], v243, v41                       // 00000000E4F4: D0CB0028 000253F3
	v_add_u32_e32 v243, 64, v243                               // 00000000E4FC: 69E7E6C0
	s_nop 0                                                    // 00000000E500: BF800000
	v_cndmask_b32_e64 v151, v69, v151, s[40:41]                // 00000000E504: D1000097 00A32F45
	v_cmp_le_u32_e64 s[40:41], v240, v41                       // 00000000E50C: D0CB0028 000253F0
	v_add_u32_e32 v240, 64, v240                               // 00000000E514: 69E1E0C0
	s_nop 0                                                    // 00000000E518: BF800000
	v_cndmask_b32_e64 v152, v69, v152, s[40:41]                // 00000000E51C: D1000098 00A33145
	v_cmp_le_u32_e64 s[40:41], v241, v41                       // 00000000E524: D0CB0028 000253F1
	v_add_u32_e32 v241, 64, v241                               // 00000000E52C: 69E3E2C0
	s_nop 0                                                    // 00000000E530: BF800000
	v_cndmask_b32_e64 v153, v69, v153, s[40:41]                // 00000000E534: D1000099 00A33345
	v_cmp_le_u32_e64 s[40:41], v242, v41                       // 00000000E53C: D0CB0028 000253F2
	v_add_u32_e32 v242, 64, v242                               // 00000000E544: 69E5E4C0
	s_nop 0                                                    // 00000000E548: BF800000
	v_cndmask_b32_e64 v154, v69, v154, s[40:41]                // 00000000E54C: D100009A 00A33545
	v_cmp_le_u32_e64 s[40:41], v243, v41                       // 00000000E554: D0CB0028 000253F3
	v_add_u32_e32 v243, 64, v243                               // 00000000E55C: 69E7E6C0
	s_nop 0                                                    // 00000000E560: BF800000
	v_cndmask_b32_e64 v155, v69, v155, s[40:41]                // 00000000E564: D100009B 00A33745
	v_cmp_le_u32_e64 s[40:41], v240, v41                       // 00000000E56C: D0CB0028 000253F0
	v_add_u32_e32 v240, 64, v240                               // 00000000E574: 69E1E0C0
	s_nop 0                                                    // 00000000E578: BF800000
	v_cndmask_b32_e64 v156, v69, v156, s[40:41]                // 00000000E57C: D100009C 00A33945
	v_cmp_le_u32_e64 s[40:41], v241, v41                       // 00000000E584: D0CB0028 000253F1
	v_add_u32_e32 v241, 64, v241                               // 00000000E58C: 69E3E2C0
	s_nop 0                                                    // 00000000E590: BF800000
	v_cndmask_b32_e64 v157, v69, v157, s[40:41]                // 00000000E594: D100009D 00A33B45
	v_cmp_le_u32_e64 s[40:41], v242, v41                       // 00000000E59C: D0CB0028 000253F2
	v_add_u32_e32 v242, 64, v242                               // 00000000E5A4: 69E5E4C0
	s_nop 0                                                    // 00000000E5A8: BF800000
	v_cndmask_b32_e64 v158, v69, v158, s[40:41]                // 00000000E5AC: D100009E 00A33D45
	v_cmp_le_u32_e64 s[40:41], v243, v41                       // 00000000E5B4: D0CB0028 000253F3
	v_add_u32_e32 v243, 64, v243                               // 00000000E5BC: 69E7E6C0
	s_nop 0                                                    // 00000000E5C0: BF800000
	v_cndmask_b32_e64 v159, v69, v159, s[40:41]                // 00000000E5C4: D100009F 00A33F45

000000000000e5cc <label_30F3>:
	s_add_u32 s90, s91, s90                                    // 00000000E5CC: 805A5A5B
	v_mov_b32_e32 v62, v144                                    // 00000000E5D0: 7E7C0390
	v_max3_f32 v62, v144, v145, v62                            // 00000000E5D4: D1D3003E 04FB2390
	v_max3_f32 v62, v146, v147, v62                            // 00000000E5DC: D1D3003E 04FB2792
	v_max3_f32 v62, v148, v149, v62                            // 00000000E5E4: D1D3003E 04FB2B94
	v_max3_f32 v62, v150, v151, v62                            // 00000000E5EC: D1D3003E 04FB2F96
	v_max3_f32 v62, v152, v153, v62                            // 00000000E5F4: D1D3003E 04FB3398
	v_max3_f32 v62, v154, v155, v62                            // 00000000E5FC: D1D3003E 04FB379A
	v_max3_f32 v62, v156, v157, v62                            // 00000000E604: D1D3003E 04FB3B9C
	v_max3_f32 v62, v158, v159, v62                            // 00000000E60C: D1D3003E 04FB3F9E
	ds_write_b32 v11, v62 offset:16896                         // 00000000E614: D81A4200 00003E0B
	v_mul_f32_e32 v232, v64, v232                              // 00000000E61C: 0BD1D140
	v_mul_f32_e32 v233, v64, v233                              // 00000000E620: 0BD3D340
	v_mul_f32_e32 v234, v64, v234                              // 00000000E624: 0BD5D540
	v_mul_f32_e32 v235, v64, v235                              // 00000000E628: 0BD7D740
	v_mul_f32_e32 v236, v64, v236                              // 00000000E62C: 0BD9D940
	v_mul_f32_e32 v237, v64, v237                              // 00000000E630: 0BDBDB40
	v_mul_f32_e32 v238, v64, v238                              // 00000000E634: 0BDDDD40
	v_mul_f32_e32 v239, v64, v239                              // 00000000E638: 0BDFDF40
	s_waitcnt lgkmcnt(0)                                       // 00000000E63C: BF8CC07F
	s_barrier                                                  // 00000000E640: BF8A0000
	ds_read_b32 v80, v10 offset:16896                          // 00000000E644: D86C4200 5000000A
	ds_read_b32 v81, v10 offset:16960                          // 00000000E64C: D86C4240 5100000A
	ds_read_b32 v82, v10 offset:17024                          // 00000000E654: D86C4280 5200000A
	ds_read_b32 v83, v10 offset:17088                          // 00000000E65C: D86C42C0 5300000A
	ds_read_b32 v84, v10 offset:17152                          // 00000000E664: D86C4300 5400000A
	ds_read_b32 v85, v10 offset:17216                          // 00000000E66C: D86C4340 5500000A
	ds_read_b32 v86, v10 offset:17280                          // 00000000E674: D86C4380 5600000A
	ds_read_b32 v87, v10 offset:17344                          // 00000000E67C: D86C43C0 5700000A
	ds_read_b32 v88, v10 offset:17408                          // 00000000E684: D86C4400 5800000A
	ds_read_b32 v89, v10 offset:17472                          // 00000000E68C: D86C4440 5900000A
	ds_read_b32 v90, v10 offset:17536                          // 00000000E694: D86C4480 5A00000A
	ds_read_b32 v91, v10 offset:17600                          // 00000000E69C: D86C44C0 5B00000A
	ds_read_b32 v92, v10 offset:17664                          // 00000000E6A4: D86C4500 5C00000A
	ds_read_b32 v93, v10 offset:17728                          // 00000000E6AC: D86C4540 5D00000A
	ds_read_b32 v94, v10 offset:17792                          // 00000000E6B4: D86C4580 5E00000A
	ds_read_b32 v95, v10 offset:17856                          // 00000000E6BC: D86C45C0 5F00000A
	v_mul_f32_e32 v200, v59, v200                              // 00000000E6C4: 0B91913B
	v_mul_f32_e32 v201, v59, v201                              // 00000000E6C8: 0B93933B
	v_mul_f32_e32 v202, v59, v202                              // 00000000E6CC: 0B95953B
	v_mul_f32_e32 v203, v59, v203                              // 00000000E6D0: 0B97973B
	v_mul_f32_e32 v204, v59, v204                              // 00000000E6D4: 0B99993B
	v_mul_f32_e32 v205, v59, v205                              // 00000000E6D8: 0B9B9B3B
	v_mul_f32_e32 v206, v59, v206                              // 00000000E6DC: 0B9D9D3B
	v_mul_f32_e32 v207, v59, v207                              // 00000000E6E0: 0B9F9F3B
	s_waitcnt lgkmcnt(0)                                       // 00000000E6E4: BF8CC07F
	v_max3_f32 v62, v80, v81, v62                              // 00000000E6E8: D1D3003E 04FAA350
	v_max3_f32 v62, v82, v83, v62                              // 00000000E6F0: D1D3003E 04FAA752
	v_max3_f32 v62, v84, v85, v62                              // 00000000E6F8: D1D3003E 04FAAB54
	v_max3_f32 v62, v86, v87, v62                              // 00000000E700: D1D3003E 04FAAF56
	v_max3_f32 v62, v88, v89, v62                              // 00000000E708: D1D3003E 04FAB358
	v_max3_f32 v62, v90, v91, v62                              // 00000000E710: D1D3003E 04FAB75A
	v_max3_f32 v62, v92, v93, v62                              // 00000000E718: D1D3003E 04FABB5C
	v_max3_f32 v62, v94, v95, v62                              // 00000000E720: D1D3003E 04FABF5E
	v_mov_b32_e32 v41, 0xff800000                              // 00000000E728: 7E5202FF FF800000
	v_cmp_eq_u32_e64 s[40:41], v41, v15                        // 00000000E730: D0CA0028 00021F29
	s_nop 1                                                    // 00000000E738: BF800001
	v_max_f32_e32 v18, v62, v15                                // 00000000E73C: 16241F3E
	v_mul_f32_e32 v67, s64, v18                                // 00000000E740: 0A862440
	v_fma_f32 v144, v144, s64, -v67                            // 00000000E744: D1CB0090 850C8190
	v_fma_f32 v145, v145, s64, -v67                            // 00000000E74C: D1CB0091 850C8191
	v_fma_f32 v146, v146, s64, -v67                            // 00000000E754: D1CB0092 850C8192
	v_fma_f32 v147, v147, s64, -v67                            // 00000000E75C: D1CB0093 850C8193
	v_fma_f32 v148, v148, s64, -v67                            // 00000000E764: D1CB0094 850C8194
	v_fma_f32 v149, v149, s64, -v67                            // 00000000E76C: D1CB0095 850C8195
	v_fma_f32 v150, v150, s64, -v67                            // 00000000E774: D1CB0096 850C8196
	v_fma_f32 v151, v151, s64, -v67                            // 00000000E77C: D1CB0097 850C8197
	v_fma_f32 v152, v152, s64, -v67                            // 00000000E784: D1CB0098 850C8198
	v_fma_f32 v153, v153, s64, -v67                            // 00000000E78C: D1CB0099 850C8199
	v_fma_f32 v154, v154, s64, -v67                            // 00000000E794: D1CB009A 850C819A
	v_fma_f32 v155, v155, s64, -v67                            // 00000000E79C: D1CB009B 850C819B
	v_fma_f32 v156, v156, s64, -v67                            // 00000000E7A4: D1CB009C 850C819C
	v_fma_f32 v157, v157, s64, -v67                            // 00000000E7AC: D1CB009D 850C819D
	v_fma_f32 v158, v158, s64, -v67                            // 00000000E7B4: D1CB009E 850C819E
	v_fma_f32 v159, v159, s64, -v67                            // 00000000E7BC: D1CB009F 850C819F
	v_exp_f32_e32 v144, v144                                   // 00000000E7C4: 7F204190
	v_exp_f32_e32 v145, v145                                   // 00000000E7C8: 7F224191
	v_exp_f32_e32 v146, v146                                   // 00000000E7CC: 7F244192
	v_exp_f32_e32 v147, v147                                   // 00000000E7D0: 7F264193
	v_exp_f32_e32 v148, v148                                   // 00000000E7D4: 7F284194
	v_exp_f32_e32 v149, v149                                   // 00000000E7D8: 7F2A4195
	v_exp_f32_e32 v150, v150                                   // 00000000E7DC: 7F2C4196
	v_exp_f32_e32 v151, v151                                   // 00000000E7E0: 7F2E4197
	v_exp_f32_e32 v152, v152                                   // 00000000E7E4: 7F304198
	v_exp_f32_e32 v153, v153                                   // 00000000E7E8: 7F324199
	v_exp_f32_e32 v154, v154                                   // 00000000E7EC: 7F34419A
	v_exp_f32_e32 v155, v155                                   // 00000000E7F0: 7F36419B
	v_exp_f32_e32 v156, v156                                   // 00000000E7F4: 7F38419C
	v_exp_f32_e32 v157, v157                                   // 00000000E7F8: 7F3A419D
	v_exp_f32_e32 v158, v158                                   // 00000000E7FC: 7F3C419E
	v_exp_f32_e32 v159, v159                                   // 00000000E800: 7F3E419F
	v_mul_f32_dpp v240, v252, v144 quad_perm:[0,0,0,0] row_mask:0xf bank_mask:0xf// 00000000E804: 0BE120FA FF0000FC
	v_mul_f32_dpp v241, v252, v145 quad_perm:[1,1,1,1] row_mask:0xf bank_mask:0xf// 00000000E80C: 0BE322FA FF0055FC
	v_mul_f32_dpp v242, v252, v146 quad_perm:[2,2,2,2] row_mask:0xf bank_mask:0xf// 00000000E814: 0BE524FA FF00AAFC
	v_mul_f32_dpp v243, v252, v147 quad_perm:[3,3,3,3] row_mask:0xf bank_mask:0xf// 00000000E81C: 0BE726FA FF00FFFC
	v_mul_f32_dpp v244, v253, v148 quad_perm:[0,0,0,0] row_mask:0xf bank_mask:0xf// 00000000E824: 0BE928FA FF0000FD
	v_mul_f32_dpp v245, v253, v149 quad_perm:[1,1,1,1] row_mask:0xf bank_mask:0xf// 00000000E82C: 0BEB2AFA FF0055FD
	v_mul_f32_dpp v246, v253, v150 quad_perm:[2,2,2,2] row_mask:0xf bank_mask:0xf// 00000000E834: 0BED2CFA FF00AAFD
	v_mul_f32_dpp v247, v253, v151 quad_perm:[3,3,3,3] row_mask:0xf bank_mask:0xf// 00000000E83C: 0BEF2EFA FF00FFFD
	v_mul_f32_dpp v248, v254, v152 quad_perm:[0,0,0,0] row_mask:0xf bank_mask:0xf// 00000000E844: 0BF130FA FF0000FE
	v_mul_f32_dpp v249, v254, v153 quad_perm:[1,1,1,1] row_mask:0xf bank_mask:0xf// 00000000E84C: 0BF332FA FF0055FE
	v_mul_f32_dpp v250, v254, v154 quad_perm:[2,2,2,2] row_mask:0xf bank_mask:0xf// 00000000E854: 0BF534FA FF00AAFE
	v_mul_f32_dpp v251, v254, v155 quad_perm:[3,3,3,3] row_mask:0xf bank_mask:0xf// 00000000E85C: 0BF736FA FF00FFFE
	v_mul_f32_dpp v252, v255, v156 quad_perm:[0,0,0,0] row_mask:0xf bank_mask:0xf// 00000000E864: 0BF938FA FF0000FF
	v_mul_f32_dpp v253, v255, v157 quad_perm:[1,1,1,1] row_mask:0xf bank_mask:0xf// 00000000E86C: 0BFB3AFA FF0055FF
	v_mul_f32_dpp v254, v255, v158 quad_perm:[2,2,2,2] row_mask:0xf bank_mask:0xf// 00000000E874: 0BFD3CFA FF00AAFF
	v_mul_f32_dpp v255, v255, v159 quad_perm:[3,3,3,3] row_mask:0xf bank_mask:0xf// 00000000E87C: 0BFF3EFA FF00FFFF
	v_mov_b32_e32 v62, 0x358637bd                              // 00000000E884: 7E7C02FF 358637BD
	v_max3_f32 v62, |v240|, |v241|, v62                        // 00000000E88C: D1D3033E 04FBE3F0
	v_max3_f32 v62, |v242|, |v243|, v62                        // 00000000E894: D1D3033E 04FBE7F2
	v_max3_f32 v62, |v244|, |v245|, v62                        // 00000000E89C: D1D3033E 04FBEBF4
	v_max3_f32 v62, |v246|, |v247|, v62                        // 00000000E8A4: D1D3033E 04FBEFF6
	v_max3_f32 v62, |v248|, |v249|, v62                        // 00000000E8AC: D1D3033E 04FBF3F8
	v_max3_f32 v62, |v250|, |v251|, v62                        // 00000000E8B4: D1D3033E 04FBF7FA
	v_max3_f32 v62, |v252|, |v253|, v62                        // 00000000E8BC: D1D3033E 04FBFBFC
	v_max3_f32 v62, |v254|, |v255|, v62                        // 00000000E8C4: D1D3033E 04FBFFFE
	ds_write_b32 v11, v62 offset:20992                         // 00000000E8CC: D81A5200 00003E0B
	v_sub_f32_e32 v64, v15, v18                                // 00000000E8D4: 0480250F
	v_cndmask_b32_e64 v64, v64, 0, s[40:41]                    // 00000000E8D8: D1000040 00A10140
	v_mov_b32_e32 v15, v18                                     // 00000000E8E0: 7E1E0312
	v_mul_f32_e32 v64, s64, v64                                // 00000000E8E4: 0A808040
	v_exp_f32_e32 v64, v64                                     // 00000000E8E8: 7E804140
	s_waitcnt lgkmcnt(0)                                       // 00000000E8EC: BF8CC07F
	s_barrier                                                  // 00000000E8F0: BF8A0000
	ds_read_b32 v80, v10 offset:20992                          // 00000000E8F4: D86C5200 5000000A
	ds_read_b32 v81, v10 offset:21056                          // 00000000E8FC: D86C5240 5100000A
	ds_read_b32 v82, v10 offset:21120                          // 00000000E904: D86C5280 5200000A
	ds_read_b32 v83, v10 offset:21184                          // 00000000E90C: D86C52C0 5300000A
	ds_read_b32 v84, v10 offset:21248                          // 00000000E914: D86C5300 5400000A
	ds_read_b32 v85, v10 offset:21312                          // 00000000E91C: D86C5340 5500000A
	ds_read_b32 v86, v10 offset:21376                          // 00000000E924: D86C5380 5600000A
	ds_read_b32 v87, v10 offset:21440                          // 00000000E92C: D86C53C0 5700000A
	ds_read_b32 v88, v10 offset:21504                          // 00000000E934: D86C5400 5800000A
	ds_read_b32 v89, v10 offset:21568                          // 00000000E93C: D86C5440 5900000A
	ds_read_b32 v90, v10 offset:21632                          // 00000000E944: D86C5480 5A00000A
	ds_read_b32 v91, v10 offset:21696                          // 00000000E94C: D86C54C0 5B00000A
	ds_read_b32 v92, v10 offset:21760                          // 00000000E954: D86C5500 5C00000A
	ds_read_b32 v93, v10 offset:21824                          // 00000000E95C: D86C5540 5D00000A
	ds_read_b32 v94, v10 offset:21888                          // 00000000E964: D86C5580 5E00000A
	ds_read_b32 v95, v10 offset:21952                          // 00000000E96C: D86C55C0 5F00000A
	v_mul_f32_e32 v48, v64, v48                                // 00000000E974: 0A606140
	v_mov_b32_e32 v18, v144                                    // 00000000E978: 7E240390
	v_add_f32_e32 v18, v145, v18                               // 00000000E97C: 02242591
	v_add_f32_e32 v18, v146, v18                               // 00000000E980: 02242592
	v_add_f32_e32 v18, v147, v18                               // 00000000E984: 02242593
	v_add_f32_e32 v18, v148, v18                               // 00000000E988: 02242594
	v_add_f32_e32 v18, v149, v18                               // 00000000E98C: 02242595
	v_add_f32_e32 v18, v150, v18                               // 00000000E990: 02242596
	v_add_f32_e32 v18, v151, v18                               // 00000000E994: 02242597
	v_add_f32_e32 v18, v152, v18                               // 00000000E998: 02242598
	v_add_f32_e32 v18, v153, v18                               // 00000000E99C: 02242599
	v_add_f32_e32 v18, v154, v18                               // 00000000E9A0: 0224259A
	v_add_f32_e32 v18, v155, v18                               // 00000000E9A4: 0224259B
	v_add_f32_e32 v18, v156, v18                               // 00000000E9A8: 0224259C
	v_add_f32_e32 v18, v157, v18                               // 00000000E9AC: 0224259D
	v_add_f32_e32 v18, v158, v18                               // 00000000E9B0: 0224259E
	v_add_f32_e32 v18, v159, v18                               // 00000000E9B4: 0224259F
	v_add_f32_e32 v48, v18, v48                                // 00000000E9B8: 02606112
	s_waitcnt lgkmcnt(0)                                       // 00000000E9BC: BF8CC07F
	v_max3_f32 v62, |v80|, |v81|, v62                          // 00000000E9C0: D1D3033E 04FAA350
	v_max3_f32 v62, |v82|, |v83|, v62                          // 00000000E9C8: D1D3033E 04FAA752
	v_max3_f32 v62, |v84|, |v85|, v62                          // 00000000E9D0: D1D3033E 04FAAB54
	v_max3_f32 v62, |v86|, |v87|, v62                          // 00000000E9D8: D1D3033E 04FAAF56
	v_max3_f32 v62, |v88|, |v89|, v62                          // 00000000E9E0: D1D3033E 04FAB358
	v_max3_f32 v62, |v90|, |v91|, v62                          // 00000000E9E8: D1D3033E 04FAB75A
	v_max3_f32 v62, |v92|, |v93|, v62                          // 00000000E9F0: D1D3033E 04FABB5C
	v_max3_f32 v62, |v94|, |v95|, v62                          // 00000000E9F8: D1D3033E 04FABF5E
	s_nop 2                                                    // 00000000EA00: BF800002
	v_rcp_f32_e32 v62, v62                                     // 00000000EA04: 7E7C453E
	s_nop 1                                                    // 00000000EA08: BF800001
	v_mul_f32_e32 v62, 0x43e00000, v62                         // 00000000EA0C: 0A7C7CFF 43E00000
	v_mul_f32_e32 v144, v62, v240                              // 00000000EA14: 0B21E13E
	v_mul_f32_e32 v145, v62, v241                              // 00000000EA18: 0B23E33E
	v_mul_f32_e32 v146, v62, v242                              // 00000000EA1C: 0B25E53E
	v_mul_f32_e32 v147, v62, v243                              // 00000000EA20: 0B27E73E
	v_mul_f32_e32 v148, v62, v244                              // 00000000EA24: 0B29E93E
	v_mul_f32_e32 v149, v62, v245                              // 00000000EA28: 0B2BEB3E
	v_mul_f32_e32 v150, v62, v246                              // 00000000EA2C: 0B2DED3E
	v_mul_f32_e32 v151, v62, v247                              // 00000000EA30: 0B2FEF3E
	v_mul_f32_e32 v152, v62, v248                              // 00000000EA34: 0B31F13E
	v_mul_f32_e32 v153, v62, v249                              // 00000000EA38: 0B33F33E
	v_mul_f32_e32 v154, v62, v250                              // 00000000EA3C: 0B35F53E
	v_mul_f32_e32 v155, v62, v251                              // 00000000EA40: 0B37F73E
	v_mul_f32_e32 v156, v62, v252                              // 00000000EA44: 0B39F93E
	v_mul_f32_e32 v157, v62, v253                              // 00000000EA48: 0B3BFB3E
	v_mul_f32_e32 v158, v62, v254                              // 00000000EA4C: 0B3DFD3E
	v_mul_f32_e32 v159, v62, v255                              // 00000000EA50: 0B3FFF3E
	v_cvt_pk_fp8_f32 v144, v144, v145                          // 00000000EA54: D2A20090 00032390
	v_cvt_pk_fp8_f32 v144, v146, v147 op_sel:[0,0,1]           // 00000000EA5C: D2A24090 00032792
	v_cvt_pk_fp8_f32 v145, v148, v149                          // 00000000EA64: D2A20091 00032B94
	v_cvt_pk_fp8_f32 v145, v150, v151 op_sel:[0,0,1]           // 00000000EA6C: D2A24091 00032F96
	v_cvt_pk_fp8_f32 v146, v152, v153                          // 00000000EA74: D2A20092 00033398
	v_cvt_pk_fp8_f32 v146, v154, v155 op_sel:[0,0,1]           // 00000000EA7C: D2A24092 0003379A
	v_cvt_pk_fp8_f32 v147, v156, v157                          // 00000000EA84: D2A20093 00033B9C
	v_cvt_pk_fp8_f32 v147, v158, v159 op_sel:[0,0,1]           // 00000000EA8C: D2A24093 00033F9E
	ds_write_b32 v13, v144 offset:29184                        // 00000000EA94: D81A7200 0000900D
	ds_write_b32 v13, v145 offset:30208                        // 00000000EA9C: D81A7600 0000910D
	ds_write_b32 v13, v146 offset:31232                        // 00000000EAA4: D81A7A00 0000920D
	ds_write_b32 v13, v147 offset:32256                        // 00000000EAAC: D81A7E00 0000930D
	v_add_f32_e32 v232, v232, v200                             // 00000000EAB4: 03D191E8
	v_add_f32_e32 v233, v233, v201                             // 00000000EAB8: 03D393E9
	v_add_f32_e32 v234, v234, v202                             // 00000000EABC: 03D595EA
	v_add_f32_e32 v235, v235, v203                             // 00000000EAC0: 03D797EB
	v_add_f32_e32 v236, v236, v204                             // 00000000EAC4: 03D999EC
	v_add_f32_e32 v237, v237, v205                             // 00000000EAC8: 03DB9BED
	v_add_f32_e32 v238, v238, v206                             // 00000000EACC: 03DD9DEE
	v_add_f32_e32 v239, v239, v207                             // 00000000EAD0: 03DF9FEF
	v_rcp_f32_e32 v59, v62                                     // 00000000EAD4: 7E76453E
	s_waitcnt lgkmcnt(0)                                       // 00000000EAD8: BF8CC07F
	s_barrier                                                  // 00000000EADC: BF8A0000
	ds_read_b64 v[144:145], v12 offset:29184                   // 00000000EAE0: D8EC7200 9000000C
	ds_read_b64 v[146:147], v12 offset:29312                   // 00000000EAE8: D8EC7280 9200000C
	ds_read_b64 v[148:149], v12 offset:30208                   // 00000000EAF0: D8EC7600 9400000C
	ds_read_b64 v[150:151], v12 offset:30336                   // 00000000EAF8: D8EC7680 9600000C
	ds_read_b64 v[152:153], v12 offset:31232                   // 00000000EB00: D8EC7A00 9800000C
	ds_read_b64 v[154:155], v12 offset:31360                   // 00000000EB08: D8EC7A80 9A00000C
	ds_read_b64 v[156:157], v12 offset:32256                   // 00000000EB10: D8EC7E00 9C00000C
	ds_read_b64 v[158:159], v12 offset:32384                   // 00000000EB18: D8EC7E80 9E00000C
	s_waitcnt vmcnt(15)                                        // 00000000EB20: BF8C0F7F
	v_mfma_f32_16x16x32_fp8_fp8 v[192:195], a[64:65], v[128:129], 0// 00000000EB24: D3F300C0 0A030140
	buffer_load_dwordx4 a[112:115], v37, s[20:23], 0 offen offset:1024// 00000000EB2C: E05C1400 80857025
	v_mfma_f32_16x16x32_fp8_fp8 v[192:195], a[66:67], v[130:131], v[192:195]// 00000000EB34: D3F300C0 0F030542
	v_mfma_f32_16x16x32_fp8_fp8 v[192:195], a[68:69], v[132:133], v[192:195]// 00000000EB3C: D3F300C0 0F030944
	v_mfma_f32_16x16x32_fp8_fp8 v[192:195], a[70:71], v[134:135], v[192:195]// 00000000EB44: D3F300C0 0F030D46
	v_mfma_f32_16x16x32_fp8_fp8 v[192:195], a[72:73], v[136:137], v[192:195]// 00000000EB4C: D3F300C0 0F031148
	buffer_load_dwordx4 a[116:119], v38, s[20:23], 0 offen offset:1024// 00000000EB54: E05C1400 80857426
	v_mfma_f32_16x16x32_fp8_fp8 v[192:195], a[74:75], v[138:139], v[192:195]// 00000000EB5C: D3F300C0 0F03154A
	v_mfma_f32_16x16x32_fp8_fp8 v[192:195], a[76:77], v[140:141], v[192:195]// 00000000EB64: D3F300C0 0F03194C
	v_mfma_f32_16x16x32_fp8_fp8 v[192:195], a[78:79], v[142:143], v[192:195]// 00000000EB6C: D3F300C0 0F031D4E
	v_mfma_f32_16x16x32_fp8_fp8 v[196:199], a[80:81], v[128:129], 0// 00000000EB74: D3F300C4 0A030150
	buffer_load_dwordx4 a[120:123], v39, s[20:23], 0 offen offset:1024// 00000000EB7C: E05C1400 80857827
	v_mfma_f32_16x16x32_fp8_fp8 v[196:199], a[82:83], v[130:131], v[196:199]// 00000000EB84: D3F300C4 0F130552
	v_mfma_f32_16x16x32_fp8_fp8 v[196:199], a[84:85], v[132:133], v[196:199]// 00000000EB8C: D3F300C4 0F130954
	v_mfma_f32_16x16x32_fp8_fp8 v[196:199], a[86:87], v[134:135], v[196:199]// 00000000EB94: D3F300C4 0F130D56
	v_mfma_f32_16x16x32_fp8_fp8 v[196:199], a[88:89], v[136:137], v[196:199]// 00000000EB9C: D3F300C4 0F131158
	buffer_load_dwordx4 a[124:127], v40, s[20:23], 0 offen offset:1024// 00000000EBA4: E05C1400 80857C28
	v_mfma_f32_16x16x32_fp8_fp8 v[196:199], a[90:91], v[138:139], v[196:199]// 00000000EBAC: D3F300C4 0F13155A
	v_mfma_f32_16x16x32_fp8_fp8 v[196:199], a[92:93], v[140:141], v[196:199]// 00000000EBB4: D3F300C4 0F13195C
	s_lshr_b32 s57, s70, 4                                     // 00000000EBBC: 8F398446
	s_add_u32 s57, 48, s57                                     // 00000000EBC0: 803939B0
	v_mfma_f32_16x16x32_fp8_fp8 v[196:199], a[94:95], v[142:143], v[196:199]// 00000000EBC4: D3F300C4 0F131D5E
	s_cmp_ge_u32 s57, s73                                      // 00000000EBCC: BF094939
	s_cselect_b32 s56, 0, s56                                  // 00000000EBD0: 85383880
	v_mfma_f32_16x16x32_fp8_fp8 v[200:203], a[64:65], v[144:145], 0// 00000000EBD4: D3F300C8 0A032140
	v_mfma_f32_16x16x32_fp8_fp8 v[200:203], a[66:67], v[146:147], v[200:203]// 00000000EBDC: D3F300C8 0F232542
	v_mfma_f32_16x16x32_fp8_fp8 v[200:203], a[68:69], v[148:149], v[200:203]// 00000000EBE4: D3F300C8 0F232944
	v_mfma_f32_16x16x32_fp8_fp8 v[200:203], a[70:71], v[150:151], v[200:203]// 00000000EBEC: D3F300C8 0F232D46
	v_mfma_f32_16x16x32_fp8_fp8 v[200:203], a[72:73], v[152:153], v[200:203]// 00000000EBF4: D3F300C8 0F233148
	v_mfma_f32_16x16x32_fp8_fp8 v[200:203], a[74:75], v[154:155], v[200:203]// 00000000EBFC: D3F300C8 0F23354A
	v_mfma_f32_16x16x32_fp8_fp8 v[200:203], a[76:77], v[156:157], v[200:203]// 00000000EC04: D3F300C8 0F23394C
	v_mfma_f32_16x16x32_fp8_fp8 v[200:203], a[78:79], v[158:159], v[200:203]// 00000000EC0C: D3F300C8 0F233D4E
	v_mfma_f32_16x16x32_fp8_fp8 v[204:207], a[80:81], v[144:145], 0// 00000000EC14: D3F300CC 0A032150
	v_mfma_f32_16x16x32_fp8_fp8 v[204:207], a[82:83], v[146:147], v[204:207]// 00000000EC1C: D3F300CC 0F332552
	v_mfma_f32_16x16x32_fp8_fp8 v[204:207], a[84:85], v[148:149], v[204:207]// 00000000EC24: D3F300CC 0F332954
	v_mfma_f32_16x16x32_fp8_fp8 v[204:207], a[86:87], v[150:151], v[204:207]// 00000000EC2C: D3F300CC 0F332D56
	v_mfma_f32_16x16x32_fp8_fp8 v[204:207], a[88:89], v[152:153], v[204:207]// 00000000EC34: D3F300CC 0F333158
	v_mfma_f32_16x16x32_fp8_fp8 v[204:207], a[90:91], v[154:155], v[204:207]// 00000000EC3C: D3F300CC 0F33355A
	v_mfma_f32_16x16x32_fp8_fp8 v[204:207], a[92:93], v[156:157], v[204:207]// 00000000EC44: D3F300CC 0F33395C
	v_mfma_f32_16x16x32_fp8_fp8 v[204:207], a[94:95], v[158:159], v[204:207]// 00000000EC4C: D3F300CC 0F333D5E
	v_add_u32_e32 v1, s56, v1                                  // 00000000EC54: 68020238
	s_addk_i32 s70, 0x100                                      // 00000000EC58: B7460100
	s_cmp_lt_i32 s70, s71                                      // 00000000EC5C: BF044746
	s_cbranch_scc0 label_2D6D                                  // 00000000EC60: BF84FAD4
	s_waitcnt vmcnt(8) lgkmcnt(0)                              // 00000000EC64: BF8C0078
	v_mul_u32_u24_dpp v41, v19, v68 row_newbcast:0 row_mask:0xf bank_mask:0xf// 00000000EC68: 105288FA FF015013
	v_mul_u32_u24_dpp v42, v19, v68 row_newbcast:4 row_mask:0xf bank_mask:0xf// 00000000EC70: 105488FA FF015413
	v_mul_u32_u24_dpp v43, v19, v68 row_newbcast:8 row_mask:0xf bank_mask:0xf// 00000000EC78: 105688FA FF015813
	v_mul_u32_u24_dpp v44, v19, v68 row_newbcast:12 row_mask:0xf bank_mask:0xf// 00000000EC80: 105888FA FF015C13
	v_add_u32_e32 v25, v41, v6                                 // 00000000EC88: 68320D29
	v_add_u32_e32 v26, v42, v6                                 // 00000000EC8C: 68340D2A
	v_add_u32_e32 v27, v43, v6                                 // 00000000EC90: 68360D2B
	v_add_u32_e32 v28, v44, v6                                 // 00000000EC94: 68380D2C
	v_mul_u32_u24_dpp v41, v19, v78 quad_perm:[0,0,0,0] row_mask:0xf bank_mask:0xf// 00000000EC98: 10529CFA FF000013
	v_add_u32_e32 v2, v41, v74                                 // 00000000ECA0: 68049529
	v_mul_u32_u24_dpp v41, v19, v78 quad_perm:[0,0,0,0] row_mask:0xf bank_mask:0xf// 00000000ECA4: 10529CFA FF000013
	v_add_u32_e32 v70, v41, v75                                // 00000000ECAC: 688C9729
	v_mfma_f32_16x16x32_fp8_fp8 v[128:131], a[32:33], v[96:97], 0// 00000000ECB0: D3F30080 0A02C120
	buffer_load_dwordx4 a[0:3], v25, s[16:19], 0 offen         // 00000000ECB8: E05C1000 80840019
	v_mfma_f32_16x16x32_fp8_fp8 v[128:131], a[34:35], v[98:99], v[128:131]// 00000000ECC0: D3F30080 0E02C522
	v_mfma_f32_16x16x32_fp8_fp8 v[128:131], a[36:37], v[100:101], v[128:131]// 00000000ECC8: D3F30080 0E02C924
	buffer_load_dword v20, v1, s[24:27], 0 offen               // 00000000ECD0: E0501000 80061401
	v_mfma_f32_16x16x32_fp8_fp8 v[128:131], a[38:39], v[102:103], v[128:131]// 00000000ECD8: D3F30080 0E02CD26
	v_mfma_f32_16x16x32_fp8_fp8 v[132:135], a[40:41], v[96:97], 0// 00000000ECE0: D3F30084 0A02C128
	buffer_load_dwordx4 a[4:7], v25, s[16:19], 0 offen offset:1024// 00000000ECE8: E05C1400 80840419
	v_mfma_f32_16x16x32_fp8_fp8 v[132:135], a[42:43], v[98:99], v[132:135]// 00000000ECF0: D3F30084 0E12C52A
	v_mfma_f32_16x16x32_fp8_fp8 v[132:135], a[44:45], v[100:101], v[132:135]// 00000000ECF8: D3F30084 0E12C92C
	v_mfma_f32_16x16x32_fp8_fp8 v[132:135], a[46:47], v[102:103], v[132:135]// 00000000ED00: D3F30084 0E12CD2E
	v_mfma_f32_16x16x32_fp8_fp8 v[136:139], a[48:49], v[96:97], 0// 00000000ED08: D3F30088 0A02C130
	buffer_load_dwordx4 a[8:11], v26, s[16:19], 0 offen        // 00000000ED10: E05C1000 8084081A
	v_mfma_f32_16x16x32_fp8_fp8 v[136:139], a[50:51], v[98:99], v[136:139]// 00000000ED18: D3F30088 0E22C532
	v_mfma_f32_16x16x32_fp8_fp8 v[136:139], a[52:53], v[100:101], v[136:139]// 00000000ED20: D3F30088 0E22C934
	v_mfma_f32_16x16x32_fp8_fp8 v[136:139], a[54:55], v[102:103], v[136:139]// 00000000ED28: D3F30088 0E22CD36
	v_mfma_f32_16x16x32_fp8_fp8 v[140:143], a[56:57], v[96:97], 0// 00000000ED30: D3F3008C 0A02C138
	buffer_load_dwordx4 a[12:15], v26, s[16:19], 0 offen offset:1024// 00000000ED38: E05C1400 80840C1A
	v_mfma_f32_16x16x32_fp8_fp8 v[140:143], a[58:59], v[98:99], v[140:143]// 00000000ED40: D3F3008C 0E32C53A
	v_mfma_f32_16x16x32_fp8_fp8 v[140:143], a[60:61], v[100:101], v[140:143]// 00000000ED48: D3F3008C 0E32C93C
	v_mfma_f32_16x16x32_fp8_fp8 v[140:143], a[62:63], v[102:103], v[140:143]// 00000000ED50: D3F3008C 0E32CD3E
	v_mfma_f32_16x16x32_fp8_fp8 v[144:147], a[32:33], v[104:105], 0// 00000000ED58: D3F30090 0A02D120
	v_mfma_f32_16x16x32_fp8_fp8 v[144:147], a[34:35], v[106:107], v[144:147]// 00000000ED60: D3F30090 0E42D522
	v_mfma_f32_16x16x32_fp8_fp8 v[144:147], a[36:37], v[108:109], v[144:147]// 00000000ED68: D3F30090 0E42D924
	v_mfma_f32_16x16x32_fp8_fp8 v[144:147], a[38:39], v[110:111], v[144:147]// 00000000ED70: D3F30090 0E42DD26
	v_mfma_f32_16x16x32_fp8_fp8 v[148:151], a[40:41], v[104:105], 0// 00000000ED78: D3F30094 0A02D128
	v_mfma_f32_16x16x32_fp8_fp8 v[148:151], a[42:43], v[106:107], v[148:151]// 00000000ED80: D3F30094 0E52D52A
	v_mfma_f32_16x16x32_fp8_fp8 v[148:151], a[44:45], v[108:109], v[148:151]// 00000000ED88: D3F30094 0E52D92C
	v_mfma_f32_16x16x32_fp8_fp8 v[148:151], a[46:47], v[110:111], v[148:151]// 00000000ED90: D3F30094 0E52DD2E
	v_mfma_f32_16x16x32_fp8_fp8 v[152:155], a[48:49], v[104:105], 0// 00000000ED98: D3F30098 0A02D130
	v_mfma_f32_16x16x32_fp8_fp8 v[152:155], a[50:51], v[106:107], v[152:155]// 00000000EDA0: D3F30098 0E62D532
	v_mfma_f32_16x16x32_fp8_fp8 v[152:155], a[52:53], v[108:109], v[152:155]// 00000000EDA8: D3F30098 0E62D934
	v_mfma_f32_16x16x32_fp8_fp8 v[152:155], a[54:55], v[110:111], v[152:155]// 00000000EDB0: D3F30098 0E62DD36
	v_mfma_f32_16x16x32_fp8_fp8 v[156:159], a[56:57], v[104:105], 0// 00000000EDB8: D3F3009C 0A02D138
	v_mfma_f32_16x16x32_fp8_fp8 v[156:159], a[58:59], v[106:107], v[156:159]// 00000000EDC0: D3F3009C 0E72D53A
	v_mfma_f32_16x16x32_fp8_fp8 v[156:159], a[60:61], v[108:109], v[156:159]// 00000000EDC8: D3F3009C 0E72D93C
	v_mfma_f32_16x16x32_fp8_fp8 v[156:159], a[62:63], v[110:111], v[156:159]// 00000000EDD0: D3F3009C 0E72DD3E
	buffer_load_dword v52, v2, s[32:35], 0 offen               // 00000000EDD8: E0501000 80083402
	v_mov_b32_dpp v41, v53 row_shr:4 row_mask:0xf bank_mask:0xf// 00000000EDE0: 7E5202FA FF011435
	v_mov_b32_dpp v42, v53 row_shl:4 row_mask:0xf bank_mask:0xf// 00000000EDE8: 7E5402FA FF010435
	v_cndmask_b32_e64 v248, v53, v41, s[44:45]                 // 00000000EDF0: D10000F8 00B25335
	v_cndmask_b32_e64 v249, v42, v53, s[44:45]                 // 00000000EDF8: D10000F9 00B26B2A
	v_mov_b32_dpp v41, v248 row_shr:8 row_mask:0xf bank_mask:0xf// 00000000EE00: 7E5202FA FF0118F8
	v_mov_b32_dpp v42, v248 row_shl:8 row_mask:0xf bank_mask:0xf// 00000000EE08: 7E5402FA FF0108F8
	v_mov_b32_dpp v43, v249 row_shr:8 row_mask:0xf bank_mask:0xf// 00000000EE10: 7E5602FA FF0118F9
	v_mov_b32_dpp v44, v249 row_shl:8 row_mask:0xf bank_mask:0xf// 00000000EE18: 7E5802FA FF0108F9
	v_mov_b32_e32 v45, v248                                    // 00000000EE20: 7E5A03F8
	v_mov_b32_e32 v46, v249                                    // 00000000EE24: 7E5C03F9
	v_cndmask_b32_e64 v248, v45, v41, s[42:43]                 // 00000000EE28: D10000F8 00AA532D
	v_cndmask_b32_e64 v250, v45, v42, s[78:79]                 // 00000000EE30: D10000FA 013A552D
	v_cndmask_b32_e64 v249, v46, v43, s[42:43]                 // 00000000EE38: D10000F9 00AA572E
	v_cndmask_b32_e64 v251, v46, v44, s[78:79]                 // 00000000EE40: D10000FB 013A592E
	v_mov_b32_dpp v41, v73 row_shr:4 row_mask:0xf bank_mask:0xf// 00000000EE48: 7E5202FA FF011449
	v_mov_b32_dpp v42, v73 row_shl:4 row_mask:0xf bank_mask:0xf// 00000000EE50: 7E5402FA FF010449
	v_cndmask_b32_e64 v252, v73, v41, s[44:45]                 // 00000000EE58: D10000FC 00B25349
	v_cndmask_b32_e64 v253, v42, v73, s[44:45]                 // 00000000EE60: D10000FD 00B2932A
	v_mov_b32_dpp v41, v252 row_shr:8 row_mask:0xf bank_mask:0xf// 00000000EE68: 7E5202FA FF0118FC
	v_mov_b32_dpp v42, v252 row_shl:8 row_mask:0xf bank_mask:0xf// 00000000EE70: 7E5402FA FF0108FC
	v_mov_b32_dpp v43, v253 row_shr:8 row_mask:0xf bank_mask:0xf// 00000000EE78: 7E5602FA FF0118FD
	v_mov_b32_dpp v44, v253 row_shl:8 row_mask:0xf bank_mask:0xf// 00000000EE80: 7E5802FA FF0108FD
	v_mov_b32_e32 v45, v252                                    // 00000000EE88: 7E5A03FC
	v_mov_b32_e32 v46, v253                                    // 00000000EE8C: 7E5C03FD
	v_cndmask_b32_e64 v252, v45, v41, s[42:43]                 // 00000000EE90: D10000FC 00AA532D
	v_cndmask_b32_e64 v254, v45, v42, s[78:79]                 // 00000000EE98: D10000FE 013A552D
	v_cndmask_b32_e64 v253, v46, v43, s[42:43]                 // 00000000EEA0: D10000FD 00AA572E
	v_cndmask_b32_e64 v255, v46, v44, s[78:79]                 // 00000000EEA8: D10000FF 013A592E
	buffer_load_dword v72, v70, s[36:39], 0 offen              // 00000000EEB0: E0501000 80094846
	v_mul_f32_e32 v128, v54, v128                              // 00000000EEB8: 0B010136
	v_mul_f32_e32 v129, v54, v129                              // 00000000EEBC: 0B030336
	v_mul_f32_e32 v130, v54, v130                              // 00000000EEC0: 0B050536
	v_mul_f32_e32 v131, v54, v131                              // 00000000EEC4: 0B070736
	v_mul_f32_e32 v132, v54, v132                              // 00000000EEC8: 0B090936
	v_mul_f32_e32 v133, v54, v133                              // 00000000EECC: 0B0B0B36
	v_mul_f32_e32 v134, v54, v134                              // 00000000EED0: 0B0D0D36
	v_mul_f32_e32 v135, v54, v135                              // 00000000EED4: 0B0F0F36
	v_mul_f32_e32 v136, v54, v136                              // 00000000EED8: 0B111136
	v_mul_f32_e32 v137, v54, v137                              // 00000000EEDC: 0B131336
	v_mul_f32_e32 v138, v54, v138                              // 00000000EEE0: 0B151536
	v_mul_f32_e32 v139, v54, v139                              // 00000000EEE4: 0B171736
	v_mul_f32_e32 v140, v54, v140                              // 00000000EEE8: 0B191936
	v_mul_f32_e32 v141, v54, v141                              // 00000000EEEC: 0B1B1B36
	v_mul_f32_e32 v142, v54, v142                              // 00000000EEF0: 0B1D1D36
	v_mul_f32_e32 v143, v54, v143                              // 00000000EEF4: 0B1F1F36
	buffer_load_dwordx4 a[16:19], v27, s[16:19], 0 offen       // 00000000EEF8: E05C1000 8084101B
	v_mul_f32_dpp v128, v248, v128 quad_perm:[0,0,0,0] row_mask:0xf bank_mask:0xf// 00000000EF00: 0B0100FA FF0000F8
	v_mul_f32_dpp v129, v248, v129 quad_perm:[1,1,1,1] row_mask:0xf bank_mask:0xf// 00000000EF08: 0B0302FA FF0055F8
	v_mul_f32_dpp v130, v248, v130 quad_perm:[2,2,2,2] row_mask:0xf bank_mask:0xf// 00000000EF10: 0B0504FA FF00AAF8
	v_mul_f32_dpp v131, v248, v131 quad_perm:[3,3,3,3] row_mask:0xf bank_mask:0xf// 00000000EF18: 0B0706FA FF00FFF8
	v_mul_f32_dpp v132, v249, v132 quad_perm:[0,0,0,0] row_mask:0xf bank_mask:0xf// 00000000EF20: 0B0908FA FF0000F9
	v_mul_f32_dpp v133, v249, v133 quad_perm:[1,1,1,1] row_mask:0xf bank_mask:0xf// 00000000EF28: 0B0B0AFA FF0055F9
	v_mul_f32_dpp v134, v249, v134 quad_perm:[2,2,2,2] row_mask:0xf bank_mask:0xf// 00000000EF30: 0B0D0CFA FF00AAF9
	v_mul_f32_dpp v135, v249, v135 quad_perm:[3,3,3,3] row_mask:0xf bank_mask:0xf// 00000000EF38: 0B0F0EFA FF00FFF9
	v_mul_f32_dpp v136, v250, v136 quad_perm:[0,0,0,0] row_mask:0xf bank_mask:0xf// 00000000EF40: 0B1110FA FF0000FA
	v_mul_f32_dpp v137, v250, v137 quad_perm:[1,1,1,1] row_mask:0xf bank_mask:0xf// 00000000EF48: 0B1312FA FF0055FA
	v_mul_f32_dpp v138, v250, v138 quad_perm:[2,2,2,2] row_mask:0xf bank_mask:0xf// 00000000EF50: 0B1514FA FF00AAFA
	v_mul_f32_dpp v139, v250, v139 quad_perm:[3,3,3,3] row_mask:0xf bank_mask:0xf// 00000000EF58: 0B1716FA FF00FFFA
	v_mul_f32_dpp v140, v251, v140 quad_perm:[0,0,0,0] row_mask:0xf bank_mask:0xf// 00000000EF60: 0B1918FA FF0000FB
	v_mul_f32_dpp v141, v251, v141 quad_perm:[1,1,1,1] row_mask:0xf bank_mask:0xf// 00000000EF68: 0B1B1AFA FF0055FB
	v_mul_f32_dpp v142, v251, v142 quad_perm:[2,2,2,2] row_mask:0xf bank_mask:0xf// 00000000EF70: 0B1D1CFA FF00AAFB
	v_mul_f32_dpp v143, v251, v143 quad_perm:[3,3,3,3] row_mask:0xf bank_mask:0xf// 00000000EF78: 0B1F1EFA FF00FFFB
	buffer_load_dwordx4 a[20:23], v27, s[16:19], 0 offen offset:1024// 00000000EF80: E05C1400 8084141B
	s_cmp_le_i32 s90, s89                                      // 00000000EF88: BF05595A
	s_cbranch_scc1 label_33D7                                  // 00000000EF8C: BF850073
	v_mov_b32_e32 v69, 0xff800000                              // 00000000EF90: 7E8A02FF FF800000
	s_mov_b32 s60, s90                                         // 00000000EF98: BEBC005A
	s_add_u32 s61, s89, 0xff                                   // 00000000EF9C: 803DFF59 000000FF
	v_mov_b32_e32 v41, s61                                     // 00000000EFA4: 7E52023D
	v_lshrrev_b32_e32 v240, 4, v0                              // 00000000EFA8: 21E00084
	v_mul_i32_i24_e32 v240, 4, v240                            // 00000000EFAC: 0DE1E084
	v_add_u32_e32 v240, s60, v240                              // 00000000EFB0: 69E1E03C
	v_and_b32_e32 v42, 15, v0                                  // 00000000EFB4: 2654008F
	v_lshrrev_b32_e32 v42, 3, v42                              // 00000000EFB8: 20545483
	s_mov_b32 s61, 0                                           // 00000000EFBC: BEBD0080
	s_mul_i32 s60, 16, s7                                      // 00000000EFC0: 923C0790
	v_add_u32_e32 v42, s61, v42                                // 00000000EFC4: 6854543D
	v_sub_u32_e32 v240, v240, v42                              // 00000000EFC8: 6BE055F0
	v_add_u32_e32 v240, s60, v240                              // 00000000EFCC: 69E1E03C
	v_add_u32_e32 v241, 1, v240                                // 00000000EFD0: 69E3E081
	v_add_u32_e32 v242, 2, v240                                // 00000000EFD4: 69E5E082
	v_add_u32_e32 v243, 3, v240                                // 00000000EFD8: 69E7E083
	v_cmp_le_u32_e64 s[40:41], v240, v41                       // 00000000EFDC: D0CB0028 000253F0
	v_add_u32_e32 v240, 64, v240                               // 00000000EFE4: 69E1E0C0
	s_nop 0                                                    // 00000000EFE8: BF800000
	v_cndmask_b32_e64 v128, v69, v128, s[40:41]                // 00000000EFEC: D1000080 00A30145
	v_cmp_le_u32_e64 s[40:41], v241, v41                       // 00000000EFF4: D0CB0028 000253F1
	v_add_u32_e32 v241, 64, v241                               // 00000000EFFC: 69E3E2C0
	s_nop 0                                                    // 00000000F000: BF800000
	v_cndmask_b32_e64 v129, v69, v129, s[40:41]                // 00000000F004: D1000081 00A30345
	v_cmp_le_u32_e64 s[40:41], v242, v41                       // 00000000F00C: D0CB0028 000253F2
	v_add_u32_e32 v242, 64, v242                               // 00000000F014: 69E5E4C0
	s_nop 0                                                    // 00000000F018: BF800000
	v_cndmask_b32_e64 v130, v69, v130, s[40:41]                // 00000000F01C: D1000082 00A30545
	v_cmp_le_u32_e64 s[40:41], v243, v41                       // 00000000F024: D0CB0028 000253F3
	v_add_u32_e32 v243, 64, v243                               // 00000000F02C: 69E7E6C0
	s_nop 0                                                    // 00000000F030: BF800000
	v_cndmask_b32_e64 v131, v69, v131, s[40:41]                // 00000000F034: D1000083 00A30745
	v_cmp_le_u32_e64 s[40:41], v240, v41                       // 00000000F03C: D0CB0028 000253F0
	v_add_u32_e32 v240, 64, v240                               // 00000000F044: 69E1E0C0
	s_nop 0                                                    // 00000000F048: BF800000
	v_cndmask_b32_e64 v132, v69, v132, s[40:41]                // 00000000F04C: D1000084 00A30945
	v_cmp_le_u32_e64 s[40:41], v241, v41                       // 00000000F054: D0CB0028 000253F1
	v_add_u32_e32 v241, 64, v241                               // 00000000F05C: 69E3E2C0
	s_nop 0                                                    // 00000000F060: BF800000
	v_cndmask_b32_e64 v133, v69, v133, s[40:41]                // 00000000F064: D1000085 00A30B45
	v_cmp_le_u32_e64 s[40:41], v242, v41                       // 00000000F06C: D0CB0028 000253F2
	v_add_u32_e32 v242, 64, v242                               // 00000000F074: 69E5E4C0
	s_nop 0                                                    // 00000000F078: BF800000
	v_cndmask_b32_e64 v134, v69, v134, s[40:41]                // 00000000F07C: D1000086 00A30D45
	v_cmp_le_u32_e64 s[40:41], v243, v41                       // 00000000F084: D0CB0028 000253F3
	v_add_u32_e32 v243, 64, v243                               // 00000000F08C: 69E7E6C0
	s_nop 0                                                    // 00000000F090: BF800000
	v_cndmask_b32_e64 v135, v69, v135, s[40:41]                // 00000000F094: D1000087 00A30F45
	v_cmp_le_u32_e64 s[40:41], v240, v41                       // 00000000F09C: D0CB0028 000253F0
	v_add_u32_e32 v240, 64, v240                               // 00000000F0A4: 69E1E0C0
	s_nop 0                                                    // 00000000F0A8: BF800000
	v_cndmask_b32_e64 v136, v69, v136, s[40:41]                // 00000000F0AC: D1000088 00A31145
	v_cmp_le_u32_e64 s[40:41], v241, v41                       // 00000000F0B4: D0CB0028 000253F1
	v_add_u32_e32 v241, 64, v241                               // 00000000F0BC: 69E3E2C0
	s_nop 0                                                    // 00000000F0C0: BF800000
	v_cndmask_b32_e64 v137, v69, v137, s[40:41]                // 00000000F0C4: D1000089 00A31345
	v_cmp_le_u32_e64 s[40:41], v242, v41                       // 00000000F0CC: D0CB0028 000253F2
	v_add_u32_e32 v242, 64, v242                               // 00000000F0D4: 69E5E4C0
	s_nop 0                                                    // 00000000F0D8: BF800000
	v_cndmask_b32_e64 v138, v69, v138, s[40:41]                // 00000000F0DC: D100008A 00A31545
	v_cmp_le_u32_e64 s[40:41], v243, v41                       // 00000000F0E4: D0CB0028 000253F3
	v_add_u32_e32 v243, 64, v243                               // 00000000F0EC: 69E7E6C0
	s_nop 0                                                    // 00000000F0F0: BF800000
	v_cndmask_b32_e64 v139, v69, v139, s[40:41]                // 00000000F0F4: D100008B 00A31745
	v_cmp_le_u32_e64 s[40:41], v240, v41                       // 00000000F0FC: D0CB0028 000253F0
	v_add_u32_e32 v240, 64, v240                               // 00000000F104: 69E1E0C0
	s_nop 0                                                    // 00000000F108: BF800000
	v_cndmask_b32_e64 v140, v69, v140, s[40:41]                // 00000000F10C: D100008C 00A31945
	v_cmp_le_u32_e64 s[40:41], v241, v41                       // 00000000F114: D0CB0028 000253F1
	v_add_u32_e32 v241, 64, v241                               // 00000000F11C: 69E3E2C0
	s_nop 0                                                    // 00000000F120: BF800000
	v_cndmask_b32_e64 v141, v69, v141, s[40:41]                // 00000000F124: D100008D 00A31B45
	v_cmp_le_u32_e64 s[40:41], v242, v41                       // 00000000F12C: D0CB0028 000253F2
	v_add_u32_e32 v242, 64, v242                               // 00000000F134: 69E5E4C0
	s_nop 0                                                    // 00000000F138: BF800000
	v_cndmask_b32_e64 v142, v69, v142, s[40:41]                // 00000000F13C: D100008E 00A31D45
	v_cmp_le_u32_e64 s[40:41], v243, v41                       // 00000000F144: D0CB0028 000253F3
	v_add_u32_e32 v243, 64, v243                               // 00000000F14C: 69E7E6C0
	s_nop 0                                                    // 00000000F150: BF800000
	v_cndmask_b32_e64 v143, v69, v143, s[40:41]                // 00000000F154: D100008F 00A31F45

000000000000f15c <label_33D7>:
	v_mov_b32_e32 v62, v128                                    // 00000000F15C: 7E7C0380
	v_max3_f32 v62, v128, v129, v62                            // 00000000F160: D1D3003E 04FB0380
	v_max3_f32 v62, v130, v131, v62                            // 00000000F168: D1D3003E 04FB0782
	v_max3_f32 v62, v132, v133, v62                            // 00000000F170: D1D3003E 04FB0B84
	v_max3_f32 v62, v134, v135, v62                            // 00000000F178: D1D3003E 04FB0F86
	v_max3_f32 v62, v136, v137, v62                            // 00000000F180: D1D3003E 04FB1388
	v_max3_f32 v62, v138, v139, v62                            // 00000000F188: D1D3003E 04FB178A
	v_max3_f32 v62, v140, v141, v62                            // 00000000F190: D1D3003E 04FB1B8C
	v_max3_f32 v62, v142, v143, v62                            // 00000000F198: D1D3003E 04FB1F8E
	ds_write_b32 v11, v62 offset:16896                         // 00000000F1A0: D81A4200 00003E0B
	buffer_load_dwordx4 a[24:27], v28, s[16:19], 0 offen       // 00000000F1A8: E05C1000 8084181C
	v_mul_u32_u24_dpp v41, v19, v68 row_newbcast:1 row_mask:0xf bank_mask:0xf// 00000000F1B0: 105288FA FF015113
	v_mul_u32_u24_dpp v42, v19, v68 row_newbcast:5 row_mask:0xf bank_mask:0xf// 00000000F1B8: 105488FA FF015513
	v_mul_u32_u24_dpp v43, v19, v68 row_newbcast:9 row_mask:0xf bank_mask:0xf// 00000000F1C0: 105688FA FF015913
	v_mul_u32_u24_dpp v44, v19, v68 row_newbcast:13 row_mask:0xf bank_mask:0xf// 00000000F1C8: 105888FA FF015D13
	v_add_u32_e32 v33, v41, v7                                 // 00000000F1D0: 68420F29
	v_add_u32_e32 v34, v42, v7                                 // 00000000F1D4: 68440F2A
	v_add_u32_e32 v35, v43, v7                                 // 00000000F1D8: 68460F2B
	v_add_u32_e32 v36, v44, v7                                 // 00000000F1DC: 68480F2C
	v_mul_f32_e32 v224, v63, v224                              // 00000000F1E0: 0BC1C13F
	v_mul_f32_e32 v225, v63, v225                              // 00000000F1E4: 0BC3C33F
	v_mul_f32_e32 v226, v63, v226                              // 00000000F1E8: 0BC5C53F
	v_mul_f32_e32 v227, v63, v227                              // 00000000F1EC: 0BC7C73F
	v_mul_f32_e32 v228, v63, v228                              // 00000000F1F0: 0BC9C93F
	v_mul_f32_e32 v229, v63, v229                              // 00000000F1F4: 0BCBCB3F
	v_mul_f32_e32 v230, v63, v230                              // 00000000F1F8: 0BCDCD3F
	v_mul_f32_e32 v231, v63, v231                              // 00000000F1FC: 0BCFCF3F
	s_waitcnt lgkmcnt(0)                                       // 00000000F200: BF8CC07F
	s_barrier                                                  // 00000000F204: BF8A0000
	ds_read_b32 v80, v10 offset:16896                          // 00000000F208: D86C4200 5000000A
	ds_read_b32 v81, v10 offset:16960                          // 00000000F210: D86C4240 5100000A
	ds_read_b32 v82, v10 offset:17024                          // 00000000F218: D86C4280 5200000A
	ds_read_b32 v83, v10 offset:17088                          // 00000000F220: D86C42C0 5300000A
	ds_read_b32 v84, v10 offset:17152                          // 00000000F228: D86C4300 5400000A
	ds_read_b32 v85, v10 offset:17216                          // 00000000F230: D86C4340 5500000A
	ds_read_b32 v86, v10 offset:17280                          // 00000000F238: D86C4380 5600000A
	ds_read_b32 v87, v10 offset:17344                          // 00000000F240: D86C43C0 5700000A
	ds_read_b32 v88, v10 offset:17408                          // 00000000F248: D86C4400 5800000A
	ds_read_b32 v89, v10 offset:17472                          // 00000000F250: D86C4440 5900000A
	ds_read_b32 v90, v10 offset:17536                          // 00000000F258: D86C4480 5A00000A
	ds_read_b32 v91, v10 offset:17600                          // 00000000F260: D86C44C0 5B00000A
	ds_read_b32 v92, v10 offset:17664                          // 00000000F268: D86C4500 5C00000A
	ds_read_b32 v93, v10 offset:17728                          // 00000000F270: D86C4540 5D00000A
	ds_read_b32 v94, v10 offset:17792                          // 00000000F278: D86C4580 5E00000A
	ds_read_b32 v95, v10 offset:17856                          // 00000000F280: D86C45C0 5F00000A
	buffer_load_dwordx4 a[28:31], v28, s[16:19], 0 offen offset:1024// 00000000F288: E05C1400 80841C1C
	v_mul_f32_e32 v192, v58, v192                              // 00000000F290: 0B81813A
	v_mul_f32_e32 v193, v58, v193                              // 00000000F294: 0B83833A
	v_mul_f32_e32 v194, v58, v194                              // 00000000F298: 0B85853A
	v_mul_f32_e32 v195, v58, v195                              // 00000000F29C: 0B87873A
	v_mul_f32_e32 v196, v58, v196                              // 00000000F2A0: 0B89893A
	v_mul_f32_e32 v197, v58, v197                              // 00000000F2A4: 0B8B8B3A
	v_mul_f32_e32 v198, v58, v198                              // 00000000F2A8: 0B8D8D3A
	v_mul_f32_e32 v199, v58, v199                              // 00000000F2AC: 0B8F8F3A
	s_waitcnt lgkmcnt(0)                                       // 00000000F2B0: BF8CC07F
	v_max3_f32 v62, v80, v81, v62                              // 00000000F2B4: D1D3003E 04FAA350
	v_max3_f32 v62, v82, v83, v62                              // 00000000F2BC: D1D3003E 04FAA752
	v_max3_f32 v62, v84, v85, v62                              // 00000000F2C4: D1D3003E 04FAAB54
	v_max3_f32 v62, v86, v87, v62                              // 00000000F2CC: D1D3003E 04FAAF56
	v_max3_f32 v62, v88, v89, v62                              // 00000000F2D4: D1D3003E 04FAB358
	v_max3_f32 v62, v90, v91, v62                              // 00000000F2DC: D1D3003E 04FAB75A
	v_max3_f32 v62, v92, v93, v62                              // 00000000F2E4: D1D3003E 04FABB5C
	v_max3_f32 v62, v94, v95, v62                              // 00000000F2EC: D1D3003E 04FABF5E
	buffer_load_dwordx4 a[64:67], v33, s[20:23], 0 offen       // 00000000F2F4: E05C1000 80854021
	v_mov_b32_e32 v41, 0xff800000                              // 00000000F2FC: 7E5202FF FF800000
	v_cmp_eq_u32_e64 s[40:41], v41, v14                        // 00000000F304: D0CA0028 00021D29
	s_nop 1                                                    // 00000000F30C: BF800001
	v_max_f32_e32 v18, v62, v14                                // 00000000F310: 16241D3E
	v_mul_f32_e32 v67, s64, v18                                // 00000000F314: 0A862440
	v_fma_f32 v128, v128, s64, -v67                            // 00000000F318: D1CB0080 850C8180
	v_fma_f32 v129, v129, s64, -v67                            // 00000000F320: D1CB0081 850C8181
	v_fma_f32 v130, v130, s64, -v67                            // 00000000F328: D1CB0082 850C8182
	v_fma_f32 v131, v131, s64, -v67                            // 00000000F330: D1CB0083 850C8183
	v_fma_f32 v132, v132, s64, -v67                            // 00000000F338: D1CB0084 850C8184
	v_fma_f32 v133, v133, s64, -v67                            // 00000000F340: D1CB0085 850C8185
	v_fma_f32 v134, v134, s64, -v67                            // 00000000F348: D1CB0086 850C8186
	v_fma_f32 v135, v135, s64, -v67                            // 00000000F350: D1CB0087 850C8187
	v_fma_f32 v136, v136, s64, -v67                            // 00000000F358: D1CB0088 850C8188
	v_fma_f32 v137, v137, s64, -v67                            // 00000000F360: D1CB0089 850C8189
	v_fma_f32 v138, v138, s64, -v67                            // 00000000F368: D1CB008A 850C818A
	v_fma_f32 v139, v139, s64, -v67                            // 00000000F370: D1CB008B 850C818B
	v_fma_f32 v140, v140, s64, -v67                            // 00000000F378: D1CB008C 850C818C
	v_fma_f32 v141, v141, s64, -v67                            // 00000000F380: D1CB008D 850C818D
	v_fma_f32 v142, v142, s64, -v67                            // 00000000F388: D1CB008E 850C818E
	v_fma_f32 v143, v143, s64, -v67                            // 00000000F390: D1CB008F 850C818F
	buffer_load_dwordx4 a[68:71], v34, s[20:23], 0 offen       // 00000000F398: E05C1000 80854422
	v_exp_f32_e32 v128, v128                                   // 00000000F3A0: 7F004180
	v_exp_f32_e32 v129, v129                                   // 00000000F3A4: 7F024181
	v_exp_f32_e32 v130, v130                                   // 00000000F3A8: 7F044182
	v_exp_f32_e32 v131, v131                                   // 00000000F3AC: 7F064183
	v_exp_f32_e32 v132, v132                                   // 00000000F3B0: 7F084184
	v_exp_f32_e32 v133, v133                                   // 00000000F3B4: 7F0A4185
	v_exp_f32_e32 v134, v134                                   // 00000000F3B8: 7F0C4186
	v_exp_f32_e32 v135, v135                                   // 00000000F3BC: 7F0E4187
	v_exp_f32_e32 v136, v136                                   // 00000000F3C0: 7F104188
	v_exp_f32_e32 v137, v137                                   // 00000000F3C4: 7F124189
	v_exp_f32_e32 v138, v138                                   // 00000000F3C8: 7F14418A
	v_exp_f32_e32 v139, v139                                   // 00000000F3CC: 7F16418B
	v_exp_f32_e32 v140, v140                                   // 00000000F3D0: 7F18418C
	v_exp_f32_e32 v141, v141                                   // 00000000F3D4: 7F1A418D
	v_exp_f32_e32 v142, v142                                   // 00000000F3D8: 7F1C418E
	v_exp_f32_e32 v143, v143                                   // 00000000F3DC: 7F1E418F
	buffer_load_dwordx4 a[72:75], v35, s[20:23], 0 offen       // 00000000F3E0: E05C1000 80854823
	v_mul_f32_dpp v240, v252, v128 quad_perm:[0,0,0,0] row_mask:0xf bank_mask:0xf// 00000000F3E8: 0BE100FA FF0000FC
	v_mul_f32_dpp v241, v252, v129 quad_perm:[1,1,1,1] row_mask:0xf bank_mask:0xf// 00000000F3F0: 0BE302FA FF0055FC
	v_mul_f32_dpp v242, v252, v130 quad_perm:[2,2,2,2] row_mask:0xf bank_mask:0xf// 00000000F3F8: 0BE504FA FF00AAFC
	v_mul_f32_dpp v243, v252, v131 quad_perm:[3,3,3,3] row_mask:0xf bank_mask:0xf// 00000000F400: 0BE706FA FF00FFFC
	v_mul_f32_dpp v244, v253, v132 quad_perm:[0,0,0,0] row_mask:0xf bank_mask:0xf// 00000000F408: 0BE908FA FF0000FD
	v_mul_f32_dpp v245, v253, v133 quad_perm:[1,1,1,1] row_mask:0xf bank_mask:0xf// 00000000F410: 0BEB0AFA FF0055FD
	v_mul_f32_dpp v246, v253, v134 quad_perm:[2,2,2,2] row_mask:0xf bank_mask:0xf// 00000000F418: 0BED0CFA FF00AAFD
	v_mul_f32_dpp v247, v253, v135 quad_perm:[3,3,3,3] row_mask:0xf bank_mask:0xf// 00000000F420: 0BEF0EFA FF00FFFD
	v_mul_f32_dpp v248, v254, v136 quad_perm:[0,0,0,0] row_mask:0xf bank_mask:0xf// 00000000F428: 0BF110FA FF0000FE
	v_mul_f32_dpp v249, v254, v137 quad_perm:[1,1,1,1] row_mask:0xf bank_mask:0xf// 00000000F430: 0BF312FA FF0055FE
	v_mul_f32_dpp v250, v254, v138 quad_perm:[2,2,2,2] row_mask:0xf bank_mask:0xf// 00000000F438: 0BF514FA FF00AAFE
	v_mul_f32_dpp v251, v254, v139 quad_perm:[3,3,3,3] row_mask:0xf bank_mask:0xf// 00000000F440: 0BF716FA FF00FFFE
	v_mul_f32_dpp v252, v255, v140 quad_perm:[0,0,0,0] row_mask:0xf bank_mask:0xf// 00000000F448: 0BF918FA FF0000FF
	v_mul_f32_dpp v253, v255, v141 quad_perm:[1,1,1,1] row_mask:0xf bank_mask:0xf// 00000000F450: 0BFB1AFA FF0055FF
	v_mul_f32_dpp v254, v255, v142 quad_perm:[2,2,2,2] row_mask:0xf bank_mask:0xf// 00000000F458: 0BFD1CFA FF00AAFF
	v_mul_f32_dpp v255, v255, v143 quad_perm:[3,3,3,3] row_mask:0xf bank_mask:0xf// 00000000F460: 0BFF1EFA FF00FFFF
	v_mov_b32_e32 v62, 0x358637bd                              // 00000000F468: 7E7C02FF 358637BD
	v_max3_f32 v62, |v240|, |v241|, v62                        // 00000000F470: D1D3033E 04FBE3F0
	v_max3_f32 v62, |v242|, |v243|, v62                        // 00000000F478: D1D3033E 04FBE7F2
	v_max3_f32 v62, |v244|, |v245|, v62                        // 00000000F480: D1D3033E 04FBEBF4
	v_max3_f32 v62, |v246|, |v247|, v62                        // 00000000F488: D1D3033E 04FBEFF6
	v_max3_f32 v62, |v248|, |v249|, v62                        // 00000000F490: D1D3033E 04FBF3F8
	v_max3_f32 v62, |v250|, |v251|, v62                        // 00000000F498: D1D3033E 04FBF7FA
	v_max3_f32 v62, |v252|, |v253|, v62                        // 00000000F4A0: D1D3033E 04FBFBFC
	v_max3_f32 v62, |v254|, |v255|, v62                        // 00000000F4A8: D1D3033E 04FBFFFE
	buffer_load_dwordx4 a[76:79], v36, s[20:23], 0 offen       // 00000000F4B0: E05C1000 80854C24
	ds_write_b32 v11, v62 offset:20992                         // 00000000F4B8: D81A5200 00003E0B
	v_sub_f32_e32 v63, v14, v18                                // 00000000F4C0: 047E250E
	v_cndmask_b32_e64 v63, v63, 0, s[40:41]                    // 00000000F4C4: D100003F 00A1013F
	v_mov_b32_e32 v14, v18                                     // 00000000F4CC: 7E1C0312
	v_mul_f32_e32 v63, s64, v63                                // 00000000F4D0: 0A7E7E40
	v_exp_f32_e32 v63, v63                                     // 00000000F4D4: 7E7E413F
	s_waitcnt lgkmcnt(0)                                       // 00000000F4D8: BF8CC07F
	s_barrier                                                  // 00000000F4DC: BF8A0000
	ds_read_b32 v80, v10 offset:20992                          // 00000000F4E0: D86C5200 5000000A
	ds_read_b32 v81, v10 offset:21056                          // 00000000F4E8: D86C5240 5100000A
	ds_read_b32 v82, v10 offset:21120                          // 00000000F4F0: D86C5280 5200000A
	ds_read_b32 v83, v10 offset:21184                          // 00000000F4F8: D86C52C0 5300000A
	ds_read_b32 v84, v10 offset:21248                          // 00000000F500: D86C5300 5400000A
	ds_read_b32 v85, v10 offset:21312                          // 00000000F508: D86C5340 5500000A
	ds_read_b32 v86, v10 offset:21376                          // 00000000F510: D86C5380 5600000A
	ds_read_b32 v87, v10 offset:21440                          // 00000000F518: D86C53C0 5700000A
	ds_read_b32 v88, v10 offset:21504                          // 00000000F520: D86C5400 5800000A
	ds_read_b32 v89, v10 offset:21568                          // 00000000F528: D86C5440 5900000A
	ds_read_b32 v90, v10 offset:21632                          // 00000000F530: D86C5480 5A00000A
	ds_read_b32 v91, v10 offset:21696                          // 00000000F538: D86C54C0 5B00000A
	ds_read_b32 v92, v10 offset:21760                          // 00000000F540: D86C5500 5C00000A
	ds_read_b32 v93, v10 offset:21824                          // 00000000F548: D86C5540 5D00000A
	ds_read_b32 v94, v10 offset:21888                          // 00000000F550: D86C5580 5E00000A
	ds_read_b32 v95, v10 offset:21952                          // 00000000F558: D86C55C0 5F00000A
	v_mul_f32_e32 v47, v63, v47                                // 00000000F560: 0A5E5F3F
	v_mov_b32_e32 v18, v128                                    // 00000000F564: 7E240380
	v_add_f32_e32 v18, v129, v18                               // 00000000F568: 02242581
	v_add_f32_e32 v18, v130, v18                               // 00000000F56C: 02242582
	v_add_f32_e32 v18, v131, v18                               // 00000000F570: 02242583
	v_add_f32_e32 v18, v132, v18                               // 00000000F574: 02242584
	v_add_f32_e32 v18, v133, v18                               // 00000000F578: 02242585
	v_add_f32_e32 v18, v134, v18                               // 00000000F57C: 02242586
	v_add_f32_e32 v18, v135, v18                               // 00000000F580: 02242587
	v_add_f32_e32 v18, v136, v18                               // 00000000F584: 02242588
	v_add_f32_e32 v18, v137, v18                               // 00000000F588: 02242589
	v_add_f32_e32 v18, v138, v18                               // 00000000F58C: 0224258A
	v_add_f32_e32 v18, v139, v18                               // 00000000F590: 0224258B
	v_add_f32_e32 v18, v140, v18                               // 00000000F594: 0224258C
	v_add_f32_e32 v18, v141, v18                               // 00000000F598: 0224258D
	v_add_f32_e32 v18, v142, v18                               // 00000000F59C: 0224258E
	v_add_f32_e32 v18, v143, v18                               // 00000000F5A0: 0224258F
	v_add_f32_e32 v47, v18, v47                                // 00000000F5A4: 025E5F12
	s_waitcnt lgkmcnt(0)                                       // 00000000F5A8: BF8CC07F
	v_max3_f32 v62, |v80|, |v81|, v62                          // 00000000F5AC: D1D3033E 04FAA350
	v_max3_f32 v62, |v82|, |v83|, v62                          // 00000000F5B4: D1D3033E 04FAA752
	v_max3_f32 v62, |v84|, |v85|, v62                          // 00000000F5BC: D1D3033E 04FAAB54
	v_max3_f32 v62, |v86|, |v87|, v62                          // 00000000F5C4: D1D3033E 04FAAF56
	v_max3_f32 v62, |v88|, |v89|, v62                          // 00000000F5CC: D1D3033E 04FAB358
	v_max3_f32 v62, |v90|, |v91|, v62                          // 00000000F5D4: D1D3033E 04FAB75A
	v_max3_f32 v62, |v92|, |v93|, v62                          // 00000000F5DC: D1D3033E 04FABB5C
	v_max3_f32 v62, |v94|, |v95|, v62                          // 00000000F5E4: D1D3033E 04FABF5E
	s_nop 2                                                    // 00000000F5EC: BF800002
	v_rcp_f32_e32 v62, v62                                     // 00000000F5F0: 7E7C453E
	s_nop 1                                                    // 00000000F5F4: BF800001
	v_mul_f32_e32 v62, 0x43e00000, v62                         // 00000000F5F8: 0A7C7CFF 43E00000
	v_mul_f32_e32 v128, v62, v240                              // 00000000F600: 0B01E13E
	v_mul_f32_e32 v129, v62, v241                              // 00000000F604: 0B03E33E
	v_mul_f32_e32 v130, v62, v242                              // 00000000F608: 0B05E53E
	v_mul_f32_e32 v131, v62, v243                              // 00000000F60C: 0B07E73E
	v_mul_f32_e32 v132, v62, v244                              // 00000000F610: 0B09E93E
	v_mul_f32_e32 v133, v62, v245                              // 00000000F614: 0B0BEB3E
	v_mul_f32_e32 v134, v62, v246                              // 00000000F618: 0B0DED3E
	v_mul_f32_e32 v135, v62, v247                              // 00000000F61C: 0B0FEF3E
	v_mul_f32_e32 v136, v62, v248                              // 00000000F620: 0B11F13E
	v_mul_f32_e32 v137, v62, v249                              // 00000000F624: 0B13F33E
	v_mul_f32_e32 v138, v62, v250                              // 00000000F628: 0B15F53E
	v_mul_f32_e32 v139, v62, v251                              // 00000000F62C: 0B17F73E
	v_mul_f32_e32 v140, v62, v252                              // 00000000F630: 0B19F93E
	v_mul_f32_e32 v141, v62, v253                              // 00000000F634: 0B1BFB3E
	v_mul_f32_e32 v142, v62, v254                              // 00000000F638: 0B1DFD3E
	v_mul_f32_e32 v143, v62, v255                              // 00000000F63C: 0B1FFF3E
	v_cvt_pk_fp8_f32 v128, v128, v129                          // 00000000F640: D2A20080 00030380
	v_cvt_pk_fp8_f32 v128, v130, v131 op_sel:[0,0,1]           // 00000000F648: D2A24080 00030782
	v_cvt_pk_fp8_f32 v129, v132, v133                          // 00000000F650: D2A20081 00030B84
	v_cvt_pk_fp8_f32 v129, v134, v135 op_sel:[0,0,1]           // 00000000F658: D2A24081 00030F86
	v_cvt_pk_fp8_f32 v130, v136, v137                          // 00000000F660: D2A20082 00031388
	v_cvt_pk_fp8_f32 v130, v138, v139 op_sel:[0,0,1]           // 00000000F668: D2A24082 0003178A
	v_cvt_pk_fp8_f32 v131, v140, v141                          // 00000000F670: D2A20083 00031B8C
	v_cvt_pk_fp8_f32 v131, v142, v143 op_sel:[0,0,1]           // 00000000F678: D2A24083 00031F8E
	ds_write_b32 v13, v128 offset:25088                        // 00000000F680: D81A6200 0000800D
	ds_write_b32 v13, v129 offset:26112                        // 00000000F688: D81A6600 0000810D
	ds_write_b32 v13, v130 offset:27136                        // 00000000F690: D81A6A00 0000820D
	ds_write_b32 v13, v131 offset:28160                        // 00000000F698: D81A6E00 0000830D
	v_add_f32_e32 v224, v224, v192                             // 00000000F6A0: 03C181E0
	v_add_f32_e32 v225, v225, v193                             // 00000000F6A4: 03C383E1
	v_add_f32_e32 v226, v226, v194                             // 00000000F6A8: 03C585E2
	v_add_f32_e32 v227, v227, v195                             // 00000000F6AC: 03C787E3
	v_add_f32_e32 v228, v228, v196                             // 00000000F6B0: 03C989E4
	v_add_f32_e32 v229, v229, v197                             // 00000000F6B4: 03CB8BE5
	v_add_f32_e32 v230, v230, v198                             // 00000000F6B8: 03CD8DE6
	v_add_f32_e32 v231, v231, v199                             // 00000000F6BC: 03CF8FE7
	v_rcp_f32_e32 v58, v62                                     // 00000000F6C0: 7E74453E
	s_waitcnt lgkmcnt(0)                                       // 00000000F6C4: BF8CC07F
	s_barrier                                                  // 00000000F6C8: BF8A0000
	ds_read_b64 v[128:129], v12 offset:25088                   // 00000000F6CC: D8EC6200 8000000C
	ds_read_b64 v[130:131], v12 offset:25216                   // 00000000F6D4: D8EC6280 8200000C
	ds_read_b64 v[132:133], v12 offset:26112                   // 00000000F6DC: D8EC6600 8400000C
	ds_read_b64 v[134:135], v12 offset:26240                   // 00000000F6E4: D8EC6680 8600000C
	ds_read_b64 v[136:137], v12 offset:27136                   // 00000000F6EC: D8EC6A00 8800000C
	ds_read_b64 v[138:139], v12 offset:27264                   // 00000000F6F4: D8EC6A80 8A00000C
	ds_read_b64 v[140:141], v12 offset:28160                   // 00000000F6FC: D8EC6E00 8C00000C
	ds_read_b64 v[142:143], v12 offset:28288                   // 00000000F704: D8EC6E80 8E00000C
	v_mov_b32_dpp v41, v53 row_shr:4 row_mask:0xf bank_mask:0xf// 00000000F70C: 7E5202FA FF011435
	v_mov_b32_dpp v42, v53 row_shl:4 row_mask:0xf bank_mask:0xf// 00000000F714: 7E5402FA FF010435
	v_cndmask_b32_e64 v248, v53, v41, s[44:45]                 // 00000000F71C: D10000F8 00B25335
	v_cndmask_b32_e64 v249, v42, v53, s[44:45]                 // 00000000F724: D10000F9 00B26B2A
	v_mov_b32_dpp v41, v248 row_shr:8 row_mask:0xf bank_mask:0xf// 00000000F72C: 7E5202FA FF0118F8
	v_mov_b32_dpp v42, v248 row_shl:8 row_mask:0xf bank_mask:0xf// 00000000F734: 7E5402FA FF0108F8
	v_mov_b32_dpp v43, v249 row_shr:8 row_mask:0xf bank_mask:0xf// 00000000F73C: 7E5602FA FF0118F9
	v_mov_b32_dpp v44, v249 row_shl:8 row_mask:0xf bank_mask:0xf// 00000000F744: 7E5802FA FF0108F9
	v_mov_b32_e32 v45, v248                                    // 00000000F74C: 7E5A03F8
	v_mov_b32_e32 v46, v249                                    // 00000000F750: 7E5C03F9
	v_cndmask_b32_e64 v248, v45, v41, s[42:43]                 // 00000000F754: D10000F8 00AA532D
	v_cndmask_b32_e64 v250, v45, v42, s[78:79]                 // 00000000F75C: D10000FA 013A552D
	v_cndmask_b32_e64 v249, v46, v43, s[42:43]                 // 00000000F764: D10000F9 00AA572E
	v_cndmask_b32_e64 v251, v46, v44, s[78:79]                 // 00000000F76C: D10000FB 013A592E
	v_mov_b32_dpp v41, v73 row_shr:4 row_mask:0xf bank_mask:0xf// 00000000F774: 7E5202FA FF011449
	v_mov_b32_dpp v42, v73 row_shl:4 row_mask:0xf bank_mask:0xf// 00000000F77C: 7E5402FA FF010449
	v_cndmask_b32_e64 v252, v73, v41, s[44:45]                 // 00000000F784: D10000FC 00B25349
	v_cndmask_b32_e64 v253, v42, v73, s[44:45]                 // 00000000F78C: D10000FD 00B2932A
	v_mov_b32_dpp v41, v252 row_shr:8 row_mask:0xf bank_mask:0xf// 00000000F794: 7E5202FA FF0118FC
	v_mov_b32_dpp v42, v252 row_shl:8 row_mask:0xf bank_mask:0xf// 00000000F79C: 7E5402FA FF0108FC
	v_mov_b32_dpp v43, v253 row_shr:8 row_mask:0xf bank_mask:0xf// 00000000F7A4: 7E5602FA FF0118FD
	v_mov_b32_dpp v44, v253 row_shl:8 row_mask:0xf bank_mask:0xf// 00000000F7AC: 7E5802FA FF0108FD
	v_mov_b32_e32 v45, v252                                    // 00000000F7B4: 7E5A03FC
	v_mov_b32_e32 v46, v253                                    // 00000000F7B8: 7E5C03FD
	v_cndmask_b32_e64 v252, v45, v41, s[42:43]                 // 00000000F7BC: D10000FC 00AA532D
	v_cndmask_b32_e64 v254, v45, v42, s[78:79]                 // 00000000F7C4: D10000FE 013A552D
	v_cndmask_b32_e64 v253, v46, v43, s[42:43]                 // 00000000F7CC: D10000FD 00AA572E
	v_cndmask_b32_e64 v255, v46, v44, s[78:79]                 // 00000000F7D4: D10000FF 013A592E
	v_mul_f32_e32 v144, v55, v144                              // 00000000F7DC: 0B212137
	v_mul_f32_e32 v145, v55, v145                              // 00000000F7E0: 0B232337
	v_mul_f32_e32 v146, v55, v146                              // 00000000F7E4: 0B252537
	v_mul_f32_e32 v147, v55, v147                              // 00000000F7E8: 0B272737
	v_mul_f32_e32 v148, v55, v148                              // 00000000F7EC: 0B292937
	v_mul_f32_e32 v149, v55, v149                              // 00000000F7F0: 0B2B2B37
	v_mul_f32_e32 v150, v55, v150                              // 00000000F7F4: 0B2D2D37
	v_mul_f32_e32 v151, v55, v151                              // 00000000F7F8: 0B2F2F37
	v_mul_f32_e32 v152, v55, v152                              // 00000000F7FC: 0B313137
	v_mul_f32_e32 v153, v55, v153                              // 00000000F800: 0B333337
	v_mul_f32_e32 v154, v55, v154                              // 00000000F804: 0B353537
	v_mul_f32_e32 v155, v55, v155                              // 00000000F808: 0B373737
	v_mul_f32_e32 v156, v55, v156                              // 00000000F80C: 0B393937
	v_mul_f32_e32 v157, v55, v157                              // 00000000F810: 0B3B3B37
	v_mul_f32_e32 v158, v55, v158                              // 00000000F814: 0B3D3D37
	v_mul_f32_e32 v159, v55, v159                              // 00000000F818: 0B3F3F37
	v_mul_f32_dpp v144, v248, v144 quad_perm:[0,0,0,0] row_mask:0xf bank_mask:0xf// 00000000F81C: 0B2120FA FF0000F8
	v_mul_f32_dpp v145, v248, v145 quad_perm:[1,1,1,1] row_mask:0xf bank_mask:0xf// 00000000F824: 0B2322FA FF0055F8
	v_mul_f32_dpp v146, v248, v146 quad_perm:[2,2,2,2] row_mask:0xf bank_mask:0xf// 00000000F82C: 0B2524FA FF00AAF8
	v_mul_f32_dpp v147, v248, v147 quad_perm:[3,3,3,3] row_mask:0xf bank_mask:0xf// 00000000F834: 0B2726FA FF00FFF8
	v_mul_f32_dpp v148, v249, v148 quad_perm:[0,0,0,0] row_mask:0xf bank_mask:0xf// 00000000F83C: 0B2928FA FF0000F9
	v_mul_f32_dpp v149, v249, v149 quad_perm:[1,1,1,1] row_mask:0xf bank_mask:0xf// 00000000F844: 0B2B2AFA FF0055F9
	v_mul_f32_dpp v150, v249, v150 quad_perm:[2,2,2,2] row_mask:0xf bank_mask:0xf// 00000000F84C: 0B2D2CFA FF00AAF9
	v_mul_f32_dpp v151, v249, v151 quad_perm:[3,3,3,3] row_mask:0xf bank_mask:0xf// 00000000F854: 0B2F2EFA FF00FFF9
	v_mul_f32_dpp v152, v250, v152 quad_perm:[0,0,0,0] row_mask:0xf bank_mask:0xf// 00000000F85C: 0B3130FA FF0000FA
	v_mul_f32_dpp v153, v250, v153 quad_perm:[1,1,1,1] row_mask:0xf bank_mask:0xf// 00000000F864: 0B3332FA FF0055FA
	v_mul_f32_dpp v154, v250, v154 quad_perm:[2,2,2,2] row_mask:0xf bank_mask:0xf// 00000000F86C: 0B3534FA FF00AAFA
	v_mul_f32_dpp v155, v250, v155 quad_perm:[3,3,3,3] row_mask:0xf bank_mask:0xf// 00000000F874: 0B3736FA FF00FFFA
	v_mul_f32_dpp v156, v251, v156 quad_perm:[0,0,0,0] row_mask:0xf bank_mask:0xf// 00000000F87C: 0B3938FA FF0000FB
	v_mul_f32_dpp v157, v251, v157 quad_perm:[1,1,1,1] row_mask:0xf bank_mask:0xf// 00000000F884: 0B3B3AFA FF0055FB
	v_mul_f32_dpp v158, v251, v158 quad_perm:[2,2,2,2] row_mask:0xf bank_mask:0xf// 00000000F88C: 0B3D3CFA FF00AAFB
	v_mul_f32_dpp v159, v251, v159 quad_perm:[3,3,3,3] row_mask:0xf bank_mask:0xf// 00000000F894: 0B3F3EFA FF00FFFB
	s_cmp_le_i32 s90, s89                                      // 00000000F89C: BF05595A
	s_cbranch_scc1 label_361C                                  // 00000000F8A0: BF850073
	v_mov_b32_e32 v69, 0xff800000                              // 00000000F8A4: 7E8A02FF FF800000
	s_mov_b32 s60, s90                                         // 00000000F8AC: BEBC005A
	s_add_u32 s61, s89, 0xff                                   // 00000000F8B0: 803DFF59 000000FF
	v_mov_b32_e32 v41, s61                                     // 00000000F8B8: 7E52023D
	v_lshrrev_b32_e32 v240, 4, v0                              // 00000000F8BC: 21E00084
	v_mul_i32_i24_e32 v240, 4, v240                            // 00000000F8C0: 0DE1E084
	v_add_u32_e32 v240, s60, v240                              // 00000000F8C4: 69E1E03C
	v_and_b32_e32 v42, 15, v0                                  // 00000000F8C8: 2654008F
	v_lshrrev_b32_e32 v42, 3, v42                              // 00000000F8CC: 20545483
	s_mov_b32 s61, 2                                           // 00000000F8D0: BEBD0082
	s_mul_i32 s60, 16, s7                                      // 00000000F8D4: 923C0790
	v_add_u32_e32 v42, s61, v42                                // 00000000F8D8: 6854543D
	v_sub_u32_e32 v240, v240, v42                              // 00000000F8DC: 6BE055F0
	v_add_u32_e32 v240, s60, v240                              // 00000000F8E0: 69E1E03C
	v_add_u32_e32 v241, 1, v240                                // 00000000F8E4: 69E3E081
	v_add_u32_e32 v242, 2, v240                                // 00000000F8E8: 69E5E082
	v_add_u32_e32 v243, 3, v240                                // 00000000F8EC: 69E7E083
	v_cmp_le_u32_e64 s[40:41], v240, v41                       // 00000000F8F0: D0CB0028 000253F0
	v_add_u32_e32 v240, 64, v240                               // 00000000F8F8: 69E1E0C0
	s_nop 0                                                    // 00000000F8FC: BF800000
	v_cndmask_b32_e64 v144, v69, v144, s[40:41]                // 00000000F900: D1000090 00A32145
	v_cmp_le_u32_e64 s[40:41], v241, v41                       // 00000000F908: D0CB0028 000253F1
	v_add_u32_e32 v241, 64, v241                               // 00000000F910: 69E3E2C0
	s_nop 0                                                    // 00000000F914: BF800000
	v_cndmask_b32_e64 v145, v69, v145, s[40:41]                // 00000000F918: D1000091 00A32345
	v_cmp_le_u32_e64 s[40:41], v242, v41                       // 00000000F920: D0CB0028 000253F2
	v_add_u32_e32 v242, 64, v242                               // 00000000F928: 69E5E4C0
	s_nop 0                                                    // 00000000F92C: BF800000
	v_cndmask_b32_e64 v146, v69, v146, s[40:41]                // 00000000F930: D1000092 00A32545
	v_cmp_le_u32_e64 s[40:41], v243, v41                       // 00000000F938: D0CB0028 000253F3
	v_add_u32_e32 v243, 64, v243                               // 00000000F940: 69E7E6C0
	s_nop 0                                                    // 00000000F944: BF800000
	v_cndmask_b32_e64 v147, v69, v147, s[40:41]                // 00000000F948: D1000093 00A32745
	v_cmp_le_u32_e64 s[40:41], v240, v41                       // 00000000F950: D0CB0028 000253F0
	v_add_u32_e32 v240, 64, v240                               // 00000000F958: 69E1E0C0
	s_nop 0                                                    // 00000000F95C: BF800000
	v_cndmask_b32_e64 v148, v69, v148, s[40:41]                // 00000000F960: D1000094 00A32945
	v_cmp_le_u32_e64 s[40:41], v241, v41                       // 00000000F968: D0CB0028 000253F1
	v_add_u32_e32 v241, 64, v241                               // 00000000F970: 69E3E2C0
	s_nop 0                                                    // 00000000F974: BF800000
	v_cndmask_b32_e64 v149, v69, v149, s[40:41]                // 00000000F978: D1000095 00A32B45
	v_cmp_le_u32_e64 s[40:41], v242, v41                       // 00000000F980: D0CB0028 000253F2
	v_add_u32_e32 v242, 64, v242                               // 00000000F988: 69E5E4C0
	s_nop 0                                                    // 00000000F98C: BF800000
	v_cndmask_b32_e64 v150, v69, v150, s[40:41]                // 00000000F990: D1000096 00A32D45
	v_cmp_le_u32_e64 s[40:41], v243, v41                       // 00000000F998: D0CB0028 000253F3
	v_add_u32_e32 v243, 64, v243                               // 00000000F9A0: 69E7E6C0
	s_nop 0                                                    // 00000000F9A4: BF800000
	v_cndmask_b32_e64 v151, v69, v151, s[40:41]                // 00000000F9A8: D1000097 00A32F45
	v_cmp_le_u32_e64 s[40:41], v240, v41                       // 00000000F9B0: D0CB0028 000253F0
	v_add_u32_e32 v240, 64, v240                               // 00000000F9B8: 69E1E0C0
	s_nop 0                                                    // 00000000F9BC: BF800000
	v_cndmask_b32_e64 v152, v69, v152, s[40:41]                // 00000000F9C0: D1000098 00A33145
	v_cmp_le_u32_e64 s[40:41], v241, v41                       // 00000000F9C8: D0CB0028 000253F1
	v_add_u32_e32 v241, 64, v241                               // 00000000F9D0: 69E3E2C0
	s_nop 0                                                    // 00000000F9D4: BF800000
	v_cndmask_b32_e64 v153, v69, v153, s[40:41]                // 00000000F9D8: D1000099 00A33345
	v_cmp_le_u32_e64 s[40:41], v242, v41                       // 00000000F9E0: D0CB0028 000253F2
	v_add_u32_e32 v242, 64, v242                               // 00000000F9E8: 69E5E4C0
	s_nop 0                                                    // 00000000F9EC: BF800000
	v_cndmask_b32_e64 v154, v69, v154, s[40:41]                // 00000000F9F0: D100009A 00A33545
	v_cmp_le_u32_e64 s[40:41], v243, v41                       // 00000000F9F8: D0CB0028 000253F3
	v_add_u32_e32 v243, 64, v243                               // 00000000FA00: 69E7E6C0
	s_nop 0                                                    // 00000000FA04: BF800000
	v_cndmask_b32_e64 v155, v69, v155, s[40:41]                // 00000000FA08: D100009B 00A33745
	v_cmp_le_u32_e64 s[40:41], v240, v41                       // 00000000FA10: D0CB0028 000253F0
	v_add_u32_e32 v240, 64, v240                               // 00000000FA18: 69E1E0C0
	s_nop 0                                                    // 00000000FA1C: BF800000
	v_cndmask_b32_e64 v156, v69, v156, s[40:41]                // 00000000FA20: D100009C 00A33945
	v_cmp_le_u32_e64 s[40:41], v241, v41                       // 00000000FA28: D0CB0028 000253F1
	v_add_u32_e32 v241, 64, v241                               // 00000000FA30: 69E3E2C0
	s_nop 0                                                    // 00000000FA34: BF800000
	v_cndmask_b32_e64 v157, v69, v157, s[40:41]                // 00000000FA38: D100009D 00A33B45
	v_cmp_le_u32_e64 s[40:41], v242, v41                       // 00000000FA40: D0CB0028 000253F2
	v_add_u32_e32 v242, 64, v242                               // 00000000FA48: 69E5E4C0
	s_nop 0                                                    // 00000000FA4C: BF800000
	v_cndmask_b32_e64 v158, v69, v158, s[40:41]                // 00000000FA50: D100009E 00A33D45
	v_cmp_le_u32_e64 s[40:41], v243, v41                       // 00000000FA58: D0CB0028 000253F3
	v_add_u32_e32 v243, 64, v243                               // 00000000FA60: 69E7E6C0
	s_nop 0                                                    // 00000000FA64: BF800000
	v_cndmask_b32_e64 v159, v69, v159, s[40:41]                // 00000000FA68: D100009F 00A33F45

000000000000fa70 <label_361C>:
	s_add_u32 s90, s91, s90                                    // 00000000FA70: 805A5A5B
	v_mov_b32_e32 v62, v144                                    // 00000000FA74: 7E7C0390
	v_max3_f32 v62, v144, v145, v62                            // 00000000FA78: D1D3003E 04FB2390
	v_max3_f32 v62, v146, v147, v62                            // 00000000FA80: D1D3003E 04FB2792
	v_max3_f32 v62, v148, v149, v62                            // 00000000FA88: D1D3003E 04FB2B94
	v_max3_f32 v62, v150, v151, v62                            // 00000000FA90: D1D3003E 04FB2F96
	v_max3_f32 v62, v152, v153, v62                            // 00000000FA98: D1D3003E 04FB3398
	v_max3_f32 v62, v154, v155, v62                            // 00000000FAA0: D1D3003E 04FB379A
	v_max3_f32 v62, v156, v157, v62                            // 00000000FAA8: D1D3003E 04FB3B9C
	v_max3_f32 v62, v158, v159, v62                            // 00000000FAB0: D1D3003E 04FB3F9E
	ds_write_b32 v11, v62 offset:16896                         // 00000000FAB8: D81A4200 00003E0B
	v_mul_f32_e32 v232, v64, v232                              // 00000000FAC0: 0BD1D140
	v_mul_f32_e32 v233, v64, v233                              // 00000000FAC4: 0BD3D340
	v_mul_f32_e32 v234, v64, v234                              // 00000000FAC8: 0BD5D540
	v_mul_f32_e32 v235, v64, v235                              // 00000000FACC: 0BD7D740
	v_mul_f32_e32 v236, v64, v236                              // 00000000FAD0: 0BD9D940
	v_mul_f32_e32 v237, v64, v237                              // 00000000FAD4: 0BDBDB40
	v_mul_f32_e32 v238, v64, v238                              // 00000000FAD8: 0BDDDD40
	v_mul_f32_e32 v239, v64, v239                              // 00000000FADC: 0BDFDF40
	s_waitcnt lgkmcnt(0)                                       // 00000000FAE0: BF8CC07F
	s_barrier                                                  // 00000000FAE4: BF8A0000
	ds_read_b32 v80, v10 offset:16896                          // 00000000FAE8: D86C4200 5000000A
	ds_read_b32 v81, v10 offset:16960                          // 00000000FAF0: D86C4240 5100000A
	ds_read_b32 v82, v10 offset:17024                          // 00000000FAF8: D86C4280 5200000A
	ds_read_b32 v83, v10 offset:17088                          // 00000000FB00: D86C42C0 5300000A
	ds_read_b32 v84, v10 offset:17152                          // 00000000FB08: D86C4300 5400000A
	ds_read_b32 v85, v10 offset:17216                          // 00000000FB10: D86C4340 5500000A
	ds_read_b32 v86, v10 offset:17280                          // 00000000FB18: D86C4380 5600000A
	ds_read_b32 v87, v10 offset:17344                          // 00000000FB20: D86C43C0 5700000A
	ds_read_b32 v88, v10 offset:17408                          // 00000000FB28: D86C4400 5800000A
	ds_read_b32 v89, v10 offset:17472                          // 00000000FB30: D86C4440 5900000A
	ds_read_b32 v90, v10 offset:17536                          // 00000000FB38: D86C4480 5A00000A
	ds_read_b32 v91, v10 offset:17600                          // 00000000FB40: D86C44C0 5B00000A
	ds_read_b32 v92, v10 offset:17664                          // 00000000FB48: D86C4500 5C00000A
	ds_read_b32 v93, v10 offset:17728                          // 00000000FB50: D86C4540 5D00000A
	ds_read_b32 v94, v10 offset:17792                          // 00000000FB58: D86C4580 5E00000A
	ds_read_b32 v95, v10 offset:17856                          // 00000000FB60: D86C45C0 5F00000A
	v_mul_f32_e32 v200, v59, v200                              // 00000000FB68: 0B91913B
	v_mul_f32_e32 v201, v59, v201                              // 00000000FB6C: 0B93933B
	v_mul_f32_e32 v202, v59, v202                              // 00000000FB70: 0B95953B
	v_mul_f32_e32 v203, v59, v203                              // 00000000FB74: 0B97973B
	v_mul_f32_e32 v204, v59, v204                              // 00000000FB78: 0B99993B
	v_mul_f32_e32 v205, v59, v205                              // 00000000FB7C: 0B9B9B3B
	v_mul_f32_e32 v206, v59, v206                              // 00000000FB80: 0B9D9D3B
	v_mul_f32_e32 v207, v59, v207                              // 00000000FB84: 0B9F9F3B
	s_waitcnt lgkmcnt(0)                                       // 00000000FB88: BF8CC07F
	v_max3_f32 v62, v80, v81, v62                              // 00000000FB8C: D1D3003E 04FAA350
	v_max3_f32 v62, v82, v83, v62                              // 00000000FB94: D1D3003E 04FAA752
	v_max3_f32 v62, v84, v85, v62                              // 00000000FB9C: D1D3003E 04FAAB54
	v_max3_f32 v62, v86, v87, v62                              // 00000000FBA4: D1D3003E 04FAAF56
	v_max3_f32 v62, v88, v89, v62                              // 00000000FBAC: D1D3003E 04FAB358
	v_max3_f32 v62, v90, v91, v62                              // 00000000FBB4: D1D3003E 04FAB75A
	v_max3_f32 v62, v92, v93, v62                              // 00000000FBBC: D1D3003E 04FABB5C
	v_max3_f32 v62, v94, v95, v62                              // 00000000FBC4: D1D3003E 04FABF5E
	v_mov_b32_e32 v41, 0xff800000                              // 00000000FBCC: 7E5202FF FF800000
	v_cmp_eq_u32_e64 s[40:41], v41, v15                        // 00000000FBD4: D0CA0028 00021F29
	s_nop 1                                                    // 00000000FBDC: BF800001
	v_max_f32_e32 v18, v62, v15                                // 00000000FBE0: 16241F3E
	v_mul_f32_e32 v67, s64, v18                                // 00000000FBE4: 0A862440
	v_fma_f32 v144, v144, s64, -v67                            // 00000000FBE8: D1CB0090 850C8190
	v_fma_f32 v145, v145, s64, -v67                            // 00000000FBF0: D1CB0091 850C8191
	v_fma_f32 v146, v146, s64, -v67                            // 00000000FBF8: D1CB0092 850C8192
	v_fma_f32 v147, v147, s64, -v67                            // 00000000FC00: D1CB0093 850C8193
	v_fma_f32 v148, v148, s64, -v67                            // 00000000FC08: D1CB0094 850C8194
	v_fma_f32 v149, v149, s64, -v67                            // 00000000FC10: D1CB0095 850C8195
	v_fma_f32 v150, v150, s64, -v67                            // 00000000FC18: D1CB0096 850C8196
	v_fma_f32 v151, v151, s64, -v67                            // 00000000FC20: D1CB0097 850C8197
	v_fma_f32 v152, v152, s64, -v67                            // 00000000FC28: D1CB0098 850C8198
	v_fma_f32 v153, v153, s64, -v67                            // 00000000FC30: D1CB0099 850C8199
	v_fma_f32 v154, v154, s64, -v67                            // 00000000FC38: D1CB009A 850C819A
	v_fma_f32 v155, v155, s64, -v67                            // 00000000FC40: D1CB009B 850C819B
	v_fma_f32 v156, v156, s64, -v67                            // 00000000FC48: D1CB009C 850C819C
	v_fma_f32 v157, v157, s64, -v67                            // 00000000FC50: D1CB009D 850C819D
	v_fma_f32 v158, v158, s64, -v67                            // 00000000FC58: D1CB009E 850C819E
	v_fma_f32 v159, v159, s64, -v67                            // 00000000FC60: D1CB009F 850C819F
	v_exp_f32_e32 v144, v144                                   // 00000000FC68: 7F204190
	v_exp_f32_e32 v145, v145                                   // 00000000FC6C: 7F224191
	v_exp_f32_e32 v146, v146                                   // 00000000FC70: 7F244192
	v_exp_f32_e32 v147, v147                                   // 00000000FC74: 7F264193
	v_exp_f32_e32 v148, v148                                   // 00000000FC78: 7F284194
	v_exp_f32_e32 v149, v149                                   // 00000000FC7C: 7F2A4195
	v_exp_f32_e32 v150, v150                                   // 00000000FC80: 7F2C4196
	v_exp_f32_e32 v151, v151                                   // 00000000FC84: 7F2E4197
	v_exp_f32_e32 v152, v152                                   // 00000000FC88: 7F304198
	v_exp_f32_e32 v153, v153                                   // 00000000FC8C: 7F324199
	v_exp_f32_e32 v154, v154                                   // 00000000FC90: 7F34419A
	v_exp_f32_e32 v155, v155                                   // 00000000FC94: 7F36419B
	v_exp_f32_e32 v156, v156                                   // 00000000FC98: 7F38419C
	v_exp_f32_e32 v157, v157                                   // 00000000FC9C: 7F3A419D
	v_exp_f32_e32 v158, v158                                   // 00000000FCA0: 7F3C419E
	v_exp_f32_e32 v159, v159                                   // 00000000FCA4: 7F3E419F
	v_mul_f32_dpp v240, v252, v144 quad_perm:[0,0,0,0] row_mask:0xf bank_mask:0xf// 00000000FCA8: 0BE120FA FF0000FC
	v_mul_f32_dpp v241, v252, v145 quad_perm:[1,1,1,1] row_mask:0xf bank_mask:0xf// 00000000FCB0: 0BE322FA FF0055FC
	v_mul_f32_dpp v242, v252, v146 quad_perm:[2,2,2,2] row_mask:0xf bank_mask:0xf// 00000000FCB8: 0BE524FA FF00AAFC
	v_mul_f32_dpp v243, v252, v147 quad_perm:[3,3,3,3] row_mask:0xf bank_mask:0xf// 00000000FCC0: 0BE726FA FF00FFFC
	v_mul_f32_dpp v244, v253, v148 quad_perm:[0,0,0,0] row_mask:0xf bank_mask:0xf// 00000000FCC8: 0BE928FA FF0000FD
	v_mul_f32_dpp v245, v253, v149 quad_perm:[1,1,1,1] row_mask:0xf bank_mask:0xf// 00000000FCD0: 0BEB2AFA FF0055FD
	v_mul_f32_dpp v246, v253, v150 quad_perm:[2,2,2,2] row_mask:0xf bank_mask:0xf// 00000000FCD8: 0BED2CFA FF00AAFD
	v_mul_f32_dpp v247, v253, v151 quad_perm:[3,3,3,3] row_mask:0xf bank_mask:0xf// 00000000FCE0: 0BEF2EFA FF00FFFD
	v_mul_f32_dpp v248, v254, v152 quad_perm:[0,0,0,0] row_mask:0xf bank_mask:0xf// 00000000FCE8: 0BF130FA FF0000FE
	v_mul_f32_dpp v249, v254, v153 quad_perm:[1,1,1,1] row_mask:0xf bank_mask:0xf// 00000000FCF0: 0BF332FA FF0055FE
	v_mul_f32_dpp v250, v254, v154 quad_perm:[2,2,2,2] row_mask:0xf bank_mask:0xf// 00000000FCF8: 0BF534FA FF00AAFE
	v_mul_f32_dpp v251, v254, v155 quad_perm:[3,3,3,3] row_mask:0xf bank_mask:0xf// 00000000FD00: 0BF736FA FF00FFFE
	v_mul_f32_dpp v252, v255, v156 quad_perm:[0,0,0,0] row_mask:0xf bank_mask:0xf// 00000000FD08: 0BF938FA FF0000FF
	v_mul_f32_dpp v253, v255, v157 quad_perm:[1,1,1,1] row_mask:0xf bank_mask:0xf// 00000000FD10: 0BFB3AFA FF0055FF
	v_mul_f32_dpp v254, v255, v158 quad_perm:[2,2,2,2] row_mask:0xf bank_mask:0xf// 00000000FD18: 0BFD3CFA FF00AAFF
	v_mul_f32_dpp v255, v255, v159 quad_perm:[3,3,3,3] row_mask:0xf bank_mask:0xf// 00000000FD20: 0BFF3EFA FF00FFFF
	v_mov_b32_e32 v62, 0x358637bd                              // 00000000FD28: 7E7C02FF 358637BD
	v_max3_f32 v62, |v240|, |v241|, v62                        // 00000000FD30: D1D3033E 04FBE3F0
	v_max3_f32 v62, |v242|, |v243|, v62                        // 00000000FD38: D1D3033E 04FBE7F2
	v_max3_f32 v62, |v244|, |v245|, v62                        // 00000000FD40: D1D3033E 04FBEBF4
	v_max3_f32 v62, |v246|, |v247|, v62                        // 00000000FD48: D1D3033E 04FBEFF6
	v_max3_f32 v62, |v248|, |v249|, v62                        // 00000000FD50: D1D3033E 04FBF3F8
	v_max3_f32 v62, |v250|, |v251|, v62                        // 00000000FD58: D1D3033E 04FBF7FA
	v_max3_f32 v62, |v252|, |v253|, v62                        // 00000000FD60: D1D3033E 04FBFBFC
	v_max3_f32 v62, |v254|, |v255|, v62                        // 00000000FD68: D1D3033E 04FBFFFE
	ds_write_b32 v11, v62 offset:20992                         // 00000000FD70: D81A5200 00003E0B
	v_sub_f32_e32 v64, v15, v18                                // 00000000FD78: 0480250F
	v_cndmask_b32_e64 v64, v64, 0, s[40:41]                    // 00000000FD7C: D1000040 00A10140
	v_mov_b32_e32 v15, v18                                     // 00000000FD84: 7E1E0312
	v_mul_f32_e32 v64, s64, v64                                // 00000000FD88: 0A808040
	v_exp_f32_e32 v64, v64                                     // 00000000FD8C: 7E804140
	s_waitcnt lgkmcnt(0)                                       // 00000000FD90: BF8CC07F
	s_barrier                                                  // 00000000FD94: BF8A0000
	ds_read_b32 v80, v10 offset:20992                          // 00000000FD98: D86C5200 5000000A
	ds_read_b32 v81, v10 offset:21056                          // 00000000FDA0: D86C5240 5100000A
	ds_read_b32 v82, v10 offset:21120                          // 00000000FDA8: D86C5280 5200000A
	ds_read_b32 v83, v10 offset:21184                          // 00000000FDB0: D86C52C0 5300000A
	ds_read_b32 v84, v10 offset:21248                          // 00000000FDB8: D86C5300 5400000A
	ds_read_b32 v85, v10 offset:21312                          // 00000000FDC0: D86C5340 5500000A
	ds_read_b32 v86, v10 offset:21376                          // 00000000FDC8: D86C5380 5600000A
	ds_read_b32 v87, v10 offset:21440                          // 00000000FDD0: D86C53C0 5700000A
	ds_read_b32 v88, v10 offset:21504                          // 00000000FDD8: D86C5400 5800000A
	ds_read_b32 v89, v10 offset:21568                          // 00000000FDE0: D86C5440 5900000A
	ds_read_b32 v90, v10 offset:21632                          // 00000000FDE8: D86C5480 5A00000A
	ds_read_b32 v91, v10 offset:21696                          // 00000000FDF0: D86C54C0 5B00000A
	ds_read_b32 v92, v10 offset:21760                          // 00000000FDF8: D86C5500 5C00000A
	ds_read_b32 v93, v10 offset:21824                          // 00000000FE00: D86C5540 5D00000A
	ds_read_b32 v94, v10 offset:21888                          // 00000000FE08: D86C5580 5E00000A
	ds_read_b32 v95, v10 offset:21952                          // 00000000FE10: D86C55C0 5F00000A
	v_mul_f32_e32 v48, v64, v48                                // 00000000FE18: 0A606140
	v_mov_b32_e32 v18, v144                                    // 00000000FE1C: 7E240390
	v_add_f32_e32 v18, v145, v18                               // 00000000FE20: 02242591
	v_add_f32_e32 v18, v146, v18                               // 00000000FE24: 02242592
	v_add_f32_e32 v18, v147, v18                               // 00000000FE28: 02242593
	v_add_f32_e32 v18, v148, v18                               // 00000000FE2C: 02242594
	v_add_f32_e32 v18, v149, v18                               // 00000000FE30: 02242595
	v_add_f32_e32 v18, v150, v18                               // 00000000FE34: 02242596
	v_add_f32_e32 v18, v151, v18                               // 00000000FE38: 02242597
	v_add_f32_e32 v18, v152, v18                               // 00000000FE3C: 02242598
	v_add_f32_e32 v18, v153, v18                               // 00000000FE40: 02242599
	v_add_f32_e32 v18, v154, v18                               // 00000000FE44: 0224259A
	v_add_f32_e32 v18, v155, v18                               // 00000000FE48: 0224259B
	v_add_f32_e32 v18, v156, v18                               // 00000000FE4C: 0224259C
	v_add_f32_e32 v18, v157, v18                               // 00000000FE50: 0224259D
	v_add_f32_e32 v18, v158, v18                               // 00000000FE54: 0224259E
	v_add_f32_e32 v18, v159, v18                               // 00000000FE58: 0224259F
	v_add_f32_e32 v48, v18, v48                                // 00000000FE5C: 02606112
	s_waitcnt lgkmcnt(0)                                       // 00000000FE60: BF8CC07F
	v_max3_f32 v62, |v80|, |v81|, v62                          // 00000000FE64: D1D3033E 04FAA350
	v_max3_f32 v62, |v82|, |v83|, v62                          // 00000000FE6C: D1D3033E 04FAA752
	v_max3_f32 v62, |v84|, |v85|, v62                          // 00000000FE74: D1D3033E 04FAAB54
	v_max3_f32 v62, |v86|, |v87|, v62                          // 00000000FE7C: D1D3033E 04FAAF56
	v_max3_f32 v62, |v88|, |v89|, v62                          // 00000000FE84: D1D3033E 04FAB358
	v_max3_f32 v62, |v90|, |v91|, v62                          // 00000000FE8C: D1D3033E 04FAB75A
	v_max3_f32 v62, |v92|, |v93|, v62                          // 00000000FE94: D1D3033E 04FABB5C
	v_max3_f32 v62, |v94|, |v95|, v62                          // 00000000FE9C: D1D3033E 04FABF5E
	s_nop 2                                                    // 00000000FEA4: BF800002
	v_rcp_f32_e32 v62, v62                                     // 00000000FEA8: 7E7C453E
	s_nop 1                                                    // 00000000FEAC: BF800001
	v_mul_f32_e32 v62, 0x43e00000, v62                         // 00000000FEB0: 0A7C7CFF 43E00000
	v_mul_f32_e32 v144, v62, v240                              // 00000000FEB8: 0B21E13E
	v_mul_f32_e32 v145, v62, v241                              // 00000000FEBC: 0B23E33E
	v_mul_f32_e32 v146, v62, v242                              // 00000000FEC0: 0B25E53E
	v_mul_f32_e32 v147, v62, v243                              // 00000000FEC4: 0B27E73E
	v_mul_f32_e32 v148, v62, v244                              // 00000000FEC8: 0B29E93E
	v_mul_f32_e32 v149, v62, v245                              // 00000000FECC: 0B2BEB3E
	v_mul_f32_e32 v150, v62, v246                              // 00000000FED0: 0B2DED3E
	v_mul_f32_e32 v151, v62, v247                              // 00000000FED4: 0B2FEF3E
	v_mul_f32_e32 v152, v62, v248                              // 00000000FED8: 0B31F13E
	v_mul_f32_e32 v153, v62, v249                              // 00000000FEDC: 0B33F33E
	v_mul_f32_e32 v154, v62, v250                              // 00000000FEE0: 0B35F53E
	v_mul_f32_e32 v155, v62, v251                              // 00000000FEE4: 0B37F73E
	v_mul_f32_e32 v156, v62, v252                              // 00000000FEE8: 0B39F93E
	v_mul_f32_e32 v157, v62, v253                              // 00000000FEEC: 0B3BFB3E
	v_mul_f32_e32 v158, v62, v254                              // 00000000FEF0: 0B3DFD3E
	v_mul_f32_e32 v159, v62, v255                              // 00000000FEF4: 0B3FFF3E
	v_cvt_pk_fp8_f32 v144, v144, v145                          // 00000000FEF8: D2A20090 00032390
	v_cvt_pk_fp8_f32 v144, v146, v147 op_sel:[0,0,1]           // 00000000FF00: D2A24090 00032792
	v_cvt_pk_fp8_f32 v145, v148, v149                          // 00000000FF08: D2A20091 00032B94
	v_cvt_pk_fp8_f32 v145, v150, v151 op_sel:[0,0,1]           // 00000000FF10: D2A24091 00032F96
	v_cvt_pk_fp8_f32 v146, v152, v153                          // 00000000FF18: D2A20092 00033398
	v_cvt_pk_fp8_f32 v146, v154, v155 op_sel:[0,0,1]           // 00000000FF20: D2A24092 0003379A
	v_cvt_pk_fp8_f32 v147, v156, v157                          // 00000000FF28: D2A20093 00033B9C
	v_cvt_pk_fp8_f32 v147, v158, v159 op_sel:[0,0,1]           // 00000000FF30: D2A24093 00033F9E
	ds_write_b32 v13, v144 offset:29184                        // 00000000FF38: D81A7200 0000900D
	ds_write_b32 v13, v145 offset:30208                        // 00000000FF40: D81A7600 0000910D
	ds_write_b32 v13, v146 offset:31232                        // 00000000FF48: D81A7A00 0000920D
	ds_write_b32 v13, v147 offset:32256                        // 00000000FF50: D81A7E00 0000930D
	v_add_f32_e32 v232, v232, v200                             // 00000000FF58: 03D191E8
	v_add_f32_e32 v233, v233, v201                             // 00000000FF5C: 03D393E9
	v_add_f32_e32 v234, v234, v202                             // 00000000FF60: 03D595EA
	v_add_f32_e32 v235, v235, v203                             // 00000000FF64: 03D797EB
	v_add_f32_e32 v236, v236, v204                             // 00000000FF68: 03D999EC
	v_add_f32_e32 v237, v237, v205                             // 00000000FF6C: 03DB9BED
	v_add_f32_e32 v238, v238, v206                             // 00000000FF70: 03DD9DEE
	v_add_f32_e32 v239, v239, v207                             // 00000000FF74: 03DF9FEF
	v_rcp_f32_e32 v59, v62                                     // 00000000FF78: 7E76453E
	s_waitcnt lgkmcnt(0)                                       // 00000000FF7C: BF8CC07F
	s_barrier                                                  // 00000000FF80: BF8A0000
	ds_read_b64 v[144:145], v12 offset:29184                   // 00000000FF84: D8EC7200 9000000C
	ds_read_b64 v[146:147], v12 offset:29312                   // 00000000FF8C: D8EC7280 9200000C
	ds_read_b64 v[148:149], v12 offset:30208                   // 00000000FF94: D8EC7600 9400000C
	ds_read_b64 v[150:151], v12 offset:30336                   // 00000000FF9C: D8EC7680 9600000C
	ds_read_b64 v[152:153], v12 offset:31232                   // 00000000FFA4: D8EC7A00 9800000C
	ds_read_b64 v[154:155], v12 offset:31360                   // 00000000FFAC: D8EC7A80 9A00000C
	ds_read_b64 v[156:157], v12 offset:32256                   // 00000000FFB4: D8EC7E00 9C00000C
	ds_read_b64 v[158:159], v12 offset:32384                   // 00000000FFBC: D8EC7E80 9E00000C
	s_waitcnt vmcnt(15)                                        // 00000000FFC4: BF8C0F7F
	v_mfma_f32_16x16x32_fp8_fp8 v[192:195], a[96:97], v[128:129], 0// 00000000FFC8: D3F300C0 0A030160
	buffer_load_dwordx4 a[80:83], v33, s[20:23], 0 offen offset:1024// 00000000FFD0: E05C1400 80855021
	v_mfma_f32_16x16x32_fp8_fp8 v[192:195], a[98:99], v[130:131], v[192:195]// 00000000FFD8: D3F300C0 0F030562
	v_mfma_f32_16x16x32_fp8_fp8 v[192:195], a[100:101], v[132:133], v[192:195]// 00000000FFE0: D3F300C0 0F030964
	v_mfma_f32_16x16x32_fp8_fp8 v[192:195], a[102:103], v[134:135], v[192:195]// 00000000FFE8: D3F300C0 0F030D66
	v_mfma_f32_16x16x32_fp8_fp8 v[192:195], a[104:105], v[136:137], v[192:195]// 00000000FFF0: D3F300C0 0F031168
	buffer_load_dwordx4 a[84:87], v34, s[20:23], 0 offen offset:1024// 00000000FFF8: E05C1400 80855422
	v_mfma_f32_16x16x32_fp8_fp8 v[192:195], a[106:107], v[138:139], v[192:195]// 000000010000: D3F300C0 0F03156A
	v_mfma_f32_16x16x32_fp8_fp8 v[192:195], a[108:109], v[140:141], v[192:195]// 000000010008: D3F300C0 0F03196C
	v_mfma_f32_16x16x32_fp8_fp8 v[192:195], a[110:111], v[142:143], v[192:195]// 000000010010: D3F300C0 0F031D6E
	v_mfma_f32_16x16x32_fp8_fp8 v[196:199], a[112:113], v[128:129], 0// 000000010018: D3F300C4 0A030170
	buffer_load_dwordx4 a[88:91], v35, s[20:23], 0 offen offset:1024// 000000010020: E05C1400 80855823
	v_mfma_f32_16x16x32_fp8_fp8 v[196:199], a[114:115], v[130:131], v[196:199]// 000000010028: D3F300C4 0F130572
	v_mfma_f32_16x16x32_fp8_fp8 v[196:199], a[116:117], v[132:133], v[196:199]// 000000010030: D3F300C4 0F130974
	v_mfma_f32_16x16x32_fp8_fp8 v[196:199], a[118:119], v[134:135], v[196:199]// 000000010038: D3F300C4 0F130D76
	v_mfma_f32_16x16x32_fp8_fp8 v[196:199], a[120:121], v[136:137], v[196:199]// 000000010040: D3F300C4 0F131178
	buffer_load_dwordx4 a[92:95], v36, s[20:23], 0 offen offset:1024// 000000010048: E05C1400 80855C24
	v_mfma_f32_16x16x32_fp8_fp8 v[196:199], a[122:123], v[138:139], v[196:199]// 000000010050: D3F300C4 0F13157A
	v_mfma_f32_16x16x32_fp8_fp8 v[196:199], a[124:125], v[140:141], v[196:199]// 000000010058: D3F300C4 0F13197C
	s_lshr_b32 s57, s70, 4                                     // 000000010060: 8F398446
	s_add_u32 s57, 48, s57                                     // 000000010064: 803939B0
	v_mfma_f32_16x16x32_fp8_fp8 v[196:199], a[126:127], v[142:143], v[196:199]// 000000010068: D3F300C4 0F131D7E
	s_cmp_ge_u32 s57, s73                                      // 000000010070: BF094939
	s_cselect_b32 s56, 0, s56                                  // 000000010074: 85383880
	v_mfma_f32_16x16x32_fp8_fp8 v[200:203], a[96:97], v[144:145], 0// 000000010078: D3F300C8 0A032160
	v_mfma_f32_16x16x32_fp8_fp8 v[200:203], a[98:99], v[146:147], v[200:203]// 000000010080: D3F300C8 0F232562
	v_mfma_f32_16x16x32_fp8_fp8 v[200:203], a[100:101], v[148:149], v[200:203]// 000000010088: D3F300C8 0F232964
	v_mfma_f32_16x16x32_fp8_fp8 v[200:203], a[102:103], v[150:151], v[200:203]// 000000010090: D3F300C8 0F232D66
	v_mfma_f32_16x16x32_fp8_fp8 v[200:203], a[104:105], v[152:153], v[200:203]// 000000010098: D3F300C8 0F233168
	v_mfma_f32_16x16x32_fp8_fp8 v[200:203], a[106:107], v[154:155], v[200:203]// 0000000100A0: D3F300C8 0F23356A
	v_mfma_f32_16x16x32_fp8_fp8 v[200:203], a[108:109], v[156:157], v[200:203]// 0000000100A8: D3F300C8 0F23396C
	v_mfma_f32_16x16x32_fp8_fp8 v[200:203], a[110:111], v[158:159], v[200:203]// 0000000100B0: D3F300C8 0F233D6E
	v_mfma_f32_16x16x32_fp8_fp8 v[204:207], a[112:113], v[144:145], 0// 0000000100B8: D3F300CC 0A032170
	v_mfma_f32_16x16x32_fp8_fp8 v[204:207], a[114:115], v[146:147], v[204:207]// 0000000100C0: D3F300CC 0F332572
	v_mfma_f32_16x16x32_fp8_fp8 v[204:207], a[116:117], v[148:149], v[204:207]// 0000000100C8: D3F300CC 0F332974
	v_mfma_f32_16x16x32_fp8_fp8 v[204:207], a[118:119], v[150:151], v[204:207]// 0000000100D0: D3F300CC 0F332D76
	v_mfma_f32_16x16x32_fp8_fp8 v[204:207], a[120:121], v[152:153], v[204:207]// 0000000100D8: D3F300CC 0F333178
	v_mfma_f32_16x16x32_fp8_fp8 v[204:207], a[122:123], v[154:155], v[204:207]// 0000000100E0: D3F300CC 0F33357A
	v_mfma_f32_16x16x32_fp8_fp8 v[204:207], a[124:125], v[156:157], v[204:207]// 0000000100E8: D3F300CC 0F33397C
	v_mfma_f32_16x16x32_fp8_fp8 v[204:207], a[126:127], v[158:159], v[204:207]// 0000000100F0: D3F300CC 0F333D7E
	v_add_u32_e32 v1, s56, v1                                  // 0000000100F8: 68020238
	s_addk_i32 s70, 0x100                                      // 0000000100FC: B7460100
	s_cmp_lt_i32 s70, s71                                      // 000000010100: BF044746
	s_cbranch_scc0 label_2D6D                                  // 000000010104: BF84F5AB
	s_branch label_2D70                                        // 000000010108: BF82F5AD

000000000001010c <label_37C3>:
	s_lshr_b32 s60, s71, 4                                     // 00000001010C: 8F3C8447
	s_cmp_eq_i32 s60, s73                                      // 000000010110: BF00493C
	s_cbranch_scc1 label_4354                                  // 000000010114: BF850B8E
	s_lshr_b32 s60, s71, 8                                     // 000000010118: 8F3C8847
	s_and_b32 s60, s60, 1                                      // 00000001011C: 863C813C
	s_cmp_eq_i32 s60, 1                                        // 000000010120: BF00813C
	s_cbranch_scc1 label_3D8F                                  // 000000010124: BF8505C5
	s_waitcnt vmcnt(8) lgkmcnt(0)                              // 000000010128: BF8C0078
	s_barrier                                                  // 00000001012C: BF8A0000
	v_mfma_f32_16x16x32_fp8_fp8 v[128:131], a[0:1], v[96:97], 0// 000000010130: D3F30080 0A02C100
	v_mfma_f32_16x16x32_fp8_fp8 v[128:131], a[2:3], v[98:99], v[128:131]// 000000010138: D3F30080 0E02C502
	v_mfma_f32_16x16x32_fp8_fp8 v[128:131], a[4:5], v[100:101], v[128:131]// 000000010140: D3F30080 0E02C904
	v_mfma_f32_16x16x32_fp8_fp8 v[128:131], a[6:7], v[102:103], v[128:131]// 000000010148: D3F30080 0E02CD06
	v_mfma_f32_16x16x32_fp8_fp8 v[132:135], a[8:9], v[96:97], 0// 000000010150: D3F30084 0A02C108
	v_mfma_f32_16x16x32_fp8_fp8 v[132:135], a[10:11], v[98:99], v[132:135]// 000000010158: D3F30084 0E12C50A
	v_mfma_f32_16x16x32_fp8_fp8 v[132:135], a[12:13], v[100:101], v[132:135]// 000000010160: D3F30084 0E12C90C
	v_mfma_f32_16x16x32_fp8_fp8 v[132:135], a[14:15], v[102:103], v[132:135]// 000000010168: D3F30084 0E12CD0E
	v_mfma_f32_16x16x32_fp8_fp8 v[136:139], a[16:17], v[96:97], 0// 000000010170: D3F30088 0A02C110
	v_mfma_f32_16x16x32_fp8_fp8 v[136:139], a[18:19], v[98:99], v[136:139]// 000000010178: D3F30088 0E22C512
	v_mfma_f32_16x16x32_fp8_fp8 v[136:139], a[20:21], v[100:101], v[136:139]// 000000010180: D3F30088 0E22C914
	v_mfma_f32_16x16x32_fp8_fp8 v[136:139], a[22:23], v[102:103], v[136:139]// 000000010188: D3F30088 0E22CD16
	v_mfma_f32_16x16x32_fp8_fp8 v[140:143], a[24:25], v[96:97], 0// 000000010190: D3F3008C 0A02C118
	v_mfma_f32_16x16x32_fp8_fp8 v[140:143], a[26:27], v[98:99], v[140:143]// 000000010198: D3F3008C 0E32C51A
	v_mfma_f32_16x16x32_fp8_fp8 v[140:143], a[28:29], v[100:101], v[140:143]// 0000000101A0: D3F3008C 0E32C91C
	v_mfma_f32_16x16x32_fp8_fp8 v[140:143], a[30:31], v[102:103], v[140:143]// 0000000101A8: D3F3008C 0E32CD1E
	v_mfma_f32_16x16x32_fp8_fp8 v[144:147], a[0:1], v[104:105], 0// 0000000101B0: D3F30090 0A02D100
	v_mfma_f32_16x16x32_fp8_fp8 v[144:147], a[2:3], v[106:107], v[144:147]// 0000000101B8: D3F30090 0E42D502
	v_mfma_f32_16x16x32_fp8_fp8 v[144:147], a[4:5], v[108:109], v[144:147]// 0000000101C0: D3F30090 0E42D904
	v_mfma_f32_16x16x32_fp8_fp8 v[144:147], a[6:7], v[110:111], v[144:147]// 0000000101C8: D3F30090 0E42DD06
	v_mfma_f32_16x16x32_fp8_fp8 v[148:151], a[8:9], v[104:105], 0// 0000000101D0: D3F30094 0A02D108
	v_mfma_f32_16x16x32_fp8_fp8 v[148:151], a[10:11], v[106:107], v[148:151]// 0000000101D8: D3F30094 0E52D50A
	v_mfma_f32_16x16x32_fp8_fp8 v[148:151], a[12:13], v[108:109], v[148:151]// 0000000101E0: D3F30094 0E52D90C
	v_mfma_f32_16x16x32_fp8_fp8 v[148:151], a[14:15], v[110:111], v[148:151]// 0000000101E8: D3F30094 0E52DD0E
	v_mfma_f32_16x16x32_fp8_fp8 v[152:155], a[16:17], v[104:105], 0// 0000000101F0: D3F30098 0A02D110
	v_mfma_f32_16x16x32_fp8_fp8 v[152:155], a[18:19], v[106:107], v[152:155]// 0000000101F8: D3F30098 0E62D512
	v_mfma_f32_16x16x32_fp8_fp8 v[152:155], a[20:21], v[108:109], v[152:155]// 000000010200: D3F30098 0E62D914
	v_mfma_f32_16x16x32_fp8_fp8 v[152:155], a[22:23], v[110:111], v[152:155]// 000000010208: D3F30098 0E62DD16
	v_mfma_f32_16x16x32_fp8_fp8 v[156:159], a[24:25], v[104:105], 0// 000000010210: D3F3009C 0A02D118
	v_mfma_f32_16x16x32_fp8_fp8 v[156:159], a[26:27], v[106:107], v[156:159]// 000000010218: D3F3009C 0E72D51A
	v_mfma_f32_16x16x32_fp8_fp8 v[156:159], a[28:29], v[108:109], v[156:159]// 000000010220: D3F3009C 0E72D91C
	v_mfma_f32_16x16x32_fp8_fp8 v[156:159], a[30:31], v[110:111], v[156:159]// 000000010228: D3F3009C 0E72DD1E
	v_mov_b32_dpp v41, v52 row_shr:4 row_mask:0xf bank_mask:0xf// 000000010230: 7E5202FA FF011434
	v_mov_b32_dpp v42, v52 row_shl:4 row_mask:0xf bank_mask:0xf// 000000010238: 7E5402FA FF010434
	v_cndmask_b32_e64 v248, v52, v41, s[44:45]                 // 000000010240: D10000F8 00B25334
	v_cndmask_b32_e64 v249, v42, v52, s[44:45]                 // 000000010248: D10000F9 00B2692A
	v_mov_b32_dpp v41, v248 row_shr:8 row_mask:0xf bank_mask:0xf// 000000010250: 7E5202FA FF0118F8
	v_mov_b32_dpp v42, v248 row_shl:8 row_mask:0xf bank_mask:0xf// 000000010258: 7E5402FA FF0108F8
	v_mov_b32_dpp v43, v249 row_shr:8 row_mask:0xf bank_mask:0xf// 000000010260: 7E5602FA FF0118F9
	v_mov_b32_dpp v44, v249 row_shl:8 row_mask:0xf bank_mask:0xf// 000000010268: 7E5802FA FF0108F9
	v_mov_b32_e32 v45, v248                                    // 000000010270: 7E5A03F8
	v_mov_b32_e32 v46, v249                                    // 000000010274: 7E5C03F9
	v_cndmask_b32_e64 v248, v45, v41, s[42:43]                 // 000000010278: D10000F8 00AA532D
	v_cndmask_b32_e64 v250, v45, v42, s[78:79]                 // 000000010280: D10000FA 013A552D
	v_cndmask_b32_e64 v249, v46, v43, s[42:43]                 // 000000010288: D10000F9 00AA572E
	v_cndmask_b32_e64 v251, v46, v44, s[78:79]                 // 000000010290: D10000FB 013A592E
	v_mov_b32_dpp v41, v72 row_shr:4 row_mask:0xf bank_mask:0xf// 000000010298: 7E5202FA FF011448
	v_mov_b32_dpp v42, v72 row_shl:4 row_mask:0xf bank_mask:0xf// 0000000102A0: 7E5402FA FF010448
	v_cndmask_b32_e64 v252, v72, v41, s[44:45]                 // 0000000102A8: D10000FC 00B25348
	v_cndmask_b32_e64 v253, v42, v72, s[44:45]                 // 0000000102B0: D10000FD 00B2912A
	v_mov_b32_dpp v41, v252 row_shr:8 row_mask:0xf bank_mask:0xf// 0000000102B8: 7E5202FA FF0118FC
	v_mov_b32_dpp v42, v252 row_shl:8 row_mask:0xf bank_mask:0xf// 0000000102C0: 7E5402FA FF0108FC
	v_mov_b32_dpp v43, v253 row_shr:8 row_mask:0xf bank_mask:0xf// 0000000102C8: 7E5602FA FF0118FD
	v_mov_b32_dpp v44, v253 row_shl:8 row_mask:0xf bank_mask:0xf// 0000000102D0: 7E5802FA FF0108FD
	v_mov_b32_e32 v45, v252                                    // 0000000102D8: 7E5A03FC
	v_mov_b32_e32 v46, v253                                    // 0000000102DC: 7E5C03FD
	v_cndmask_b32_e64 v252, v45, v41, s[42:43]                 // 0000000102E0: D10000FC 00AA532D
	v_cndmask_b32_e64 v254, v45, v42, s[78:79]                 // 0000000102E8: D10000FE 013A552D
	v_cndmask_b32_e64 v253, v46, v43, s[42:43]                 // 0000000102F0: D10000FD 00AA572E
	v_cndmask_b32_e64 v255, v46, v44, s[78:79]                 // 0000000102F8: D10000FF 013A592E
	v_mul_f32_e32 v128, v54, v128                              // 000000010300: 0B010136
	v_mul_f32_e32 v129, v54, v129                              // 000000010304: 0B030336
	v_mul_f32_e32 v130, v54, v130                              // 000000010308: 0B050536
	v_mul_f32_e32 v131, v54, v131                              // 00000001030C: 0B070736
	v_mul_f32_e32 v132, v54, v132                              // 000000010310: 0B090936
	v_mul_f32_e32 v133, v54, v133                              // 000000010314: 0B0B0B36
	v_mul_f32_e32 v134, v54, v134                              // 000000010318: 0B0D0D36
	v_mul_f32_e32 v135, v54, v135                              // 00000001031C: 0B0F0F36
	v_mul_f32_e32 v136, v54, v136                              // 000000010320: 0B111136
	v_mul_f32_e32 v137, v54, v137                              // 000000010324: 0B131336
	v_mul_f32_e32 v138, v54, v138                              // 000000010328: 0B151536
	v_mul_f32_e32 v139, v54, v139                              // 00000001032C: 0B171736
	v_mul_f32_e32 v140, v54, v140                              // 000000010330: 0B191936
	v_mul_f32_e32 v141, v54, v141                              // 000000010334: 0B1B1B36
	v_mul_f32_e32 v142, v54, v142                              // 000000010338: 0B1D1D36
	v_mul_f32_e32 v143, v54, v143                              // 00000001033C: 0B1F1F36
	v_mul_f32_dpp v128, v248, v128 quad_perm:[0,0,0,0] row_mask:0xf bank_mask:0xf// 000000010340: 0B0100FA FF0000F8
	v_mul_f32_dpp v129, v248, v129 quad_perm:[1,1,1,1] row_mask:0xf bank_mask:0xf// 000000010348: 0B0302FA FF0055F8
	v_mul_f32_dpp v130, v248, v130 quad_perm:[2,2,2,2] row_mask:0xf bank_mask:0xf// 000000010350: 0B0504FA FF00AAF8
	v_mul_f32_dpp v131, v248, v131 quad_perm:[3,3,3,3] row_mask:0xf bank_mask:0xf// 000000010358: 0B0706FA FF00FFF8
	v_mul_f32_dpp v132, v249, v132 quad_perm:[0,0,0,0] row_mask:0xf bank_mask:0xf// 000000010360: 0B0908FA FF0000F9
	v_mul_f32_dpp v133, v249, v133 quad_perm:[1,1,1,1] row_mask:0xf bank_mask:0xf// 000000010368: 0B0B0AFA FF0055F9
	v_mul_f32_dpp v134, v249, v134 quad_perm:[2,2,2,2] row_mask:0xf bank_mask:0xf// 000000010370: 0B0D0CFA FF00AAF9
	v_mul_f32_dpp v135, v249, v135 quad_perm:[3,3,3,3] row_mask:0xf bank_mask:0xf// 000000010378: 0B0F0EFA FF00FFF9
	v_mul_f32_dpp v136, v250, v136 quad_perm:[0,0,0,0] row_mask:0xf bank_mask:0xf// 000000010380: 0B1110FA FF0000FA
	v_mul_f32_dpp v137, v250, v137 quad_perm:[1,1,1,1] row_mask:0xf bank_mask:0xf// 000000010388: 0B1312FA FF0055FA
	v_mul_f32_dpp v138, v250, v138 quad_perm:[2,2,2,2] row_mask:0xf bank_mask:0xf// 000000010390: 0B1514FA FF00AAFA
	v_mul_f32_dpp v139, v250, v139 quad_perm:[3,3,3,3] row_mask:0xf bank_mask:0xf// 000000010398: 0B1716FA FF00FFFA
	v_mul_f32_dpp v140, v251, v140 quad_perm:[0,0,0,0] row_mask:0xf bank_mask:0xf// 0000000103A0: 0B1918FA FF0000FB
	v_mul_f32_dpp v141, v251, v141 quad_perm:[1,1,1,1] row_mask:0xf bank_mask:0xf// 0000000103A8: 0B1B1AFA FF0055FB
	v_mul_f32_dpp v142, v251, v142 quad_perm:[2,2,2,2] row_mask:0xf bank_mask:0xf// 0000000103B0: 0B1D1CFA FF00AAFB
	v_mul_f32_dpp v143, v251, v143 quad_perm:[3,3,3,3] row_mask:0xf bank_mask:0xf// 0000000103B8: 0B1F1EFA FF00FFFB
	s_cmp_le_i32 s90, s89                                      // 0000000103C0: BF05595A
	s_cbranch_scc1 label_38E5                                  // 0000000103C4: BF850073
	v_mov_b32_e32 v69, 0xff800000                              // 0000000103C8: 7E8A02FF FF800000
	s_mov_b32 s60, s90                                         // 0000000103D0: BEBC005A
	s_add_u32 s61, s89, 0xff                                   // 0000000103D4: 803DFF59 000000FF
	v_mov_b32_e32 v41, s61                                     // 0000000103DC: 7E52023D
	v_lshrrev_b32_e32 v240, 4, v0                              // 0000000103E0: 21E00084
	v_mul_i32_i24_e32 v240, 4, v240                            // 0000000103E4: 0DE1E084
	v_add_u32_e32 v240, s60, v240                              // 0000000103E8: 69E1E03C
	v_and_b32_e32 v42, 15, v0                                  // 0000000103EC: 2654008F
	v_lshrrev_b32_e32 v42, 3, v42                              // 0000000103F0: 20545483
	s_mov_b32 s61, 0                                           // 0000000103F4: BEBD0080
	s_mul_i32 s60, 16, s7                                      // 0000000103F8: 923C0790
	v_add_u32_e32 v42, s61, v42                                // 0000000103FC: 6854543D
	v_sub_u32_e32 v240, v240, v42                              // 000000010400: 6BE055F0
	v_add_u32_e32 v240, s60, v240                              // 000000010404: 69E1E03C
	v_add_u32_e32 v241, 1, v240                                // 000000010408: 69E3E081
	v_add_u32_e32 v242, 2, v240                                // 00000001040C: 69E5E082
	v_add_u32_e32 v243, 3, v240                                // 000000010410: 69E7E083
	v_cmp_le_u32_e64 s[40:41], v240, v41                       // 000000010414: D0CB0028 000253F0
	v_add_u32_e32 v240, 64, v240                               // 00000001041C: 69E1E0C0
	s_nop 0                                                    // 000000010420: BF800000
	v_cndmask_b32_e64 v128, v69, v128, s[40:41]                // 000000010424: D1000080 00A30145
	v_cmp_le_u32_e64 s[40:41], v241, v41                       // 00000001042C: D0CB0028 000253F1
	v_add_u32_e32 v241, 64, v241                               // 000000010434: 69E3E2C0
	s_nop 0                                                    // 000000010438: BF800000
	v_cndmask_b32_e64 v129, v69, v129, s[40:41]                // 00000001043C: D1000081 00A30345
	v_cmp_le_u32_e64 s[40:41], v242, v41                       // 000000010444: D0CB0028 000253F2
	v_add_u32_e32 v242, 64, v242                               // 00000001044C: 69E5E4C0
	s_nop 0                                                    // 000000010450: BF800000
	v_cndmask_b32_e64 v130, v69, v130, s[40:41]                // 000000010454: D1000082 00A30545
	v_cmp_le_u32_e64 s[40:41], v243, v41                       // 00000001045C: D0CB0028 000253F3
	v_add_u32_e32 v243, 64, v243                               // 000000010464: 69E7E6C0
	s_nop 0                                                    // 000000010468: BF800000
	v_cndmask_b32_e64 v131, v69, v131, s[40:41]                // 00000001046C: D1000083 00A30745
	v_cmp_le_u32_e64 s[40:41], v240, v41                       // 000000010474: D0CB0028 000253F0
	v_add_u32_e32 v240, 64, v240                               // 00000001047C: 69E1E0C0
	s_nop 0                                                    // 000000010480: BF800000
	v_cndmask_b32_e64 v132, v69, v132, s[40:41]                // 000000010484: D1000084 00A30945
	v_cmp_le_u32_e64 s[40:41], v241, v41                       // 00000001048C: D0CB0028 000253F1
	v_add_u32_e32 v241, 64, v241                               // 000000010494: 69E3E2C0
	s_nop 0                                                    // 000000010498: BF800000
	v_cndmask_b32_e64 v133, v69, v133, s[40:41]                // 00000001049C: D1000085 00A30B45
	v_cmp_le_u32_e64 s[40:41], v242, v41                       // 0000000104A4: D0CB0028 000253F2
	v_add_u32_e32 v242, 64, v242                               // 0000000104AC: 69E5E4C0
	s_nop 0                                                    // 0000000104B0: BF800000
	v_cndmask_b32_e64 v134, v69, v134, s[40:41]                // 0000000104B4: D1000086 00A30D45
	v_cmp_le_u32_e64 s[40:41], v243, v41                       // 0000000104BC: D0CB0028 000253F3
	v_add_u32_e32 v243, 64, v243                               // 0000000104C4: 69E7E6C0
	s_nop 0                                                    // 0000000104C8: BF800000
	v_cndmask_b32_e64 v135, v69, v135, s[40:41]                // 0000000104CC: D1000087 00A30F45
	v_cmp_le_u32_e64 s[40:41], v240, v41                       // 0000000104D4: D0CB0028 000253F0
	v_add_u32_e32 v240, 64, v240                               // 0000000104DC: 69E1E0C0
	s_nop 0                                                    // 0000000104E0: BF800000
	v_cndmask_b32_e64 v136, v69, v136, s[40:41]                // 0000000104E4: D1000088 00A31145
	v_cmp_le_u32_e64 s[40:41], v241, v41                       // 0000000104EC: D0CB0028 000253F1
	v_add_u32_e32 v241, 64, v241                               // 0000000104F4: 69E3E2C0
	s_nop 0                                                    // 0000000104F8: BF800000
	v_cndmask_b32_e64 v137, v69, v137, s[40:41]                // 0000000104FC: D1000089 00A31345
	v_cmp_le_u32_e64 s[40:41], v242, v41                       // 000000010504: D0CB0028 000253F2
	v_add_u32_e32 v242, 64, v242                               // 00000001050C: 69E5E4C0
	s_nop 0                                                    // 000000010510: BF800000
	v_cndmask_b32_e64 v138, v69, v138, s[40:41]                // 000000010514: D100008A 00A31545
	v_cmp_le_u32_e64 s[40:41], v243, v41                       // 00000001051C: D0CB0028 000253F3
	v_add_u32_e32 v243, 64, v243                               // 000000010524: 69E7E6C0
	s_nop 0                                                    // 000000010528: BF800000
	v_cndmask_b32_e64 v139, v69, v139, s[40:41]                // 00000001052C: D100008B 00A31745
	v_cmp_le_u32_e64 s[40:41], v240, v41                       // 000000010534: D0CB0028 000253F0
	v_add_u32_e32 v240, 64, v240                               // 00000001053C: 69E1E0C0
	s_nop 0                                                    // 000000010540: BF800000
	v_cndmask_b32_e64 v140, v69, v140, s[40:41]                // 000000010544: D100008C 00A31945
	v_cmp_le_u32_e64 s[40:41], v241, v41                       // 00000001054C: D0CB0028 000253F1
	v_add_u32_e32 v241, 64, v241                               // 000000010554: 69E3E2C0
	s_nop 0                                                    // 000000010558: BF800000
	v_cndmask_b32_e64 v141, v69, v141, s[40:41]                // 00000001055C: D100008D 00A31B45
	v_cmp_le_u32_e64 s[40:41], v242, v41                       // 000000010564: D0CB0028 000253F2
	v_add_u32_e32 v242, 64, v242                               // 00000001056C: 69E5E4C0
	s_nop 0                                                    // 000000010570: BF800000
	v_cndmask_b32_e64 v142, v69, v142, s[40:41]                // 000000010574: D100008E 00A31D45
	v_cmp_le_u32_e64 s[40:41], v243, v41                       // 00000001057C: D0CB0028 000253F3
	v_add_u32_e32 v243, 64, v243                               // 000000010584: 69E7E6C0
	s_nop 0                                                    // 000000010588: BF800000
	v_cndmask_b32_e64 v143, v69, v143, s[40:41]                // 00000001058C: D100008F 00A31F45

0000000000010594 <label_38E5>:
	s_and_b32 s60, s72, 0xff                                   // 000000010594: 863CFF48 000000FF
	v_mov_b32_e32 v42, s60                                     // 00000001059C: 7E54023C
	v_lshrrev_b32_e32 v240, 4, v0                              // 0000000105A0: 21E00084
	v_mul_i32_i24_e32 v240, 4, v240                            // 0000000105A4: 0DE1E084
	s_mul_i32 s60, s7, 16                                      // 0000000105A8: 923C9007
	v_add_u32_e32 v240, s60, v240                              // 0000000105AC: 69E1E03C
	v_add_u32_e32 v241, 1, v240                                // 0000000105B0: 69E3E081
	v_add_u32_e32 v242, 2, v240                                // 0000000105B4: 69E5E082
	v_add_u32_e32 v243, 3, v240                                // 0000000105B8: 69E7E083
	v_mov_b32_e32 v41, 0xff800000                              // 0000000105BC: 7E5202FF FF800000
	v_cmp_lt_u32_e64 s[40:41], v240, v42                       // 0000000105C4: D0C90028 000255F0
	v_add_u32_e32 v240, 64, v240                               // 0000000105CC: 69E1E0C0
	s_nop 0                                                    // 0000000105D0: BF800000
	v_cndmask_b32_e64 v128, v41, v128, s[40:41]                // 0000000105D4: D1000080 00A30129
	v_cmp_lt_u32_e64 s[40:41], v241, v42                       // 0000000105DC: D0C90028 000255F1
	v_add_u32_e32 v241, 64, v241                               // 0000000105E4: 69E3E2C0
	s_nop 0                                                    // 0000000105E8: BF800000
	v_cndmask_b32_e64 v129, v41, v129, s[40:41]                // 0000000105EC: D1000081 00A30329
	v_cmp_lt_u32_e64 s[40:41], v242, v42                       // 0000000105F4: D0C90028 000255F2
	v_add_u32_e32 v242, 64, v242                               // 0000000105FC: 69E5E4C0
	s_nop 0                                                    // 000000010600: BF800000
	v_cndmask_b32_e64 v130, v41, v130, s[40:41]                // 000000010604: D1000082 00A30529
	v_cmp_lt_u32_e64 s[40:41], v243, v42                       // 00000001060C: D0C90028 000255F3
	v_add_u32_e32 v243, 64, v243                               // 000000010614: 69E7E6C0
	s_nop 0                                                    // 000000010618: BF800000
	v_cndmask_b32_e64 v131, v41, v131, s[40:41]                // 00000001061C: D1000083 00A30729
	v_cmp_lt_u32_e64 s[40:41], v240, v42                       // 000000010624: D0C90028 000255F0
	v_add_u32_e32 v240, 64, v240                               // 00000001062C: 69E1E0C0
	s_nop 0                                                    // 000000010630: BF800000
	v_cndmask_b32_e64 v132, v41, v132, s[40:41]                // 000000010634: D1000084 00A30929
	v_cmp_lt_u32_e64 s[40:41], v241, v42                       // 00000001063C: D0C90028 000255F1
	v_add_u32_e32 v241, 64, v241                               // 000000010644: 69E3E2C0
	s_nop 0                                                    // 000000010648: BF800000
	v_cndmask_b32_e64 v133, v41, v133, s[40:41]                // 00000001064C: D1000085 00A30B29
	v_cmp_lt_u32_e64 s[40:41], v242, v42                       // 000000010654: D0C90028 000255F2
	v_add_u32_e32 v242, 64, v242                               // 00000001065C: 69E5E4C0
	s_nop 0                                                    // 000000010660: BF800000
	v_cndmask_b32_e64 v134, v41, v134, s[40:41]                // 000000010664: D1000086 00A30D29
	v_cmp_lt_u32_e64 s[40:41], v243, v42                       // 00000001066C: D0C90028 000255F3
	v_add_u32_e32 v243, 64, v243                               // 000000010674: 69E7E6C0
	s_nop 0                                                    // 000000010678: BF800000
	v_cndmask_b32_e64 v135, v41, v135, s[40:41]                // 00000001067C: D1000087 00A30F29
	v_cmp_lt_u32_e64 s[40:41], v240, v42                       // 000000010684: D0C90028 000255F0
	v_add_u32_e32 v240, 64, v240                               // 00000001068C: 69E1E0C0
	s_nop 0                                                    // 000000010690: BF800000
	v_cndmask_b32_e64 v136, v41, v136, s[40:41]                // 000000010694: D1000088 00A31129
	v_cmp_lt_u32_e64 s[40:41], v241, v42                       // 00000001069C: D0C90028 000255F1
	v_add_u32_e32 v241, 64, v241                               // 0000000106A4: 69E3E2C0
	s_nop 0                                                    // 0000000106A8: BF800000
	v_cndmask_b32_e64 v137, v41, v137, s[40:41]                // 0000000106AC: D1000089 00A31329
	v_cmp_lt_u32_e64 s[40:41], v242, v42                       // 0000000106B4: D0C90028 000255F2
	v_add_u32_e32 v242, 64, v242                               // 0000000106BC: 69E5E4C0
	s_nop 0                                                    // 0000000106C0: BF800000
	v_cndmask_b32_e64 v138, v41, v138, s[40:41]                // 0000000106C4: D100008A 00A31529
	v_cmp_lt_u32_e64 s[40:41], v243, v42                       // 0000000106CC: D0C90028 000255F3
	v_add_u32_e32 v243, 64, v243                               // 0000000106D4: 69E7E6C0
	s_nop 0                                                    // 0000000106D8: BF800000
	v_cndmask_b32_e64 v139, v41, v139, s[40:41]                // 0000000106DC: D100008B 00A31729
	v_cmp_lt_u32_e64 s[40:41], v240, v42                       // 0000000106E4: D0C90028 000255F0
	v_add_u32_e32 v240, 64, v240                               // 0000000106EC: 69E1E0C0
	s_nop 0                                                    // 0000000106F0: BF800000
	v_cndmask_b32_e64 v140, v41, v140, s[40:41]                // 0000000106F4: D100008C 00A31929
	v_cmp_lt_u32_e64 s[40:41], v241, v42                       // 0000000106FC: D0C90028 000255F1
	v_add_u32_e32 v241, 64, v241                               // 000000010704: 69E3E2C0
	s_nop 0                                                    // 000000010708: BF800000
	v_cndmask_b32_e64 v141, v41, v141, s[40:41]                // 00000001070C: D100008D 00A31B29
	v_cmp_lt_u32_e64 s[40:41], v242, v42                       // 000000010714: D0C90028 000255F2
	v_add_u32_e32 v242, 64, v242                               // 00000001071C: 69E5E4C0
	s_nop 0                                                    // 000000010720: BF800000
	v_cndmask_b32_e64 v142, v41, v142, s[40:41]                // 000000010724: D100008E 00A31D29
	v_cmp_lt_u32_e64 s[40:41], v243, v42                       // 00000001072C: D0C90028 000255F3
	v_add_u32_e32 v243, 64, v243                               // 000000010734: 69E7E6C0
	s_nop 0                                                    // 000000010738: BF800000
	v_cndmask_b32_e64 v143, v41, v143, s[40:41]                // 00000001073C: D100008F 00A31F29
	v_mov_b32_e32 v62, v128                                    // 000000010744: 7E7C0380
	v_max3_f32 v62, v128, v129, v62                            // 000000010748: D1D3003E 04FB0380
	v_max3_f32 v62, v130, v131, v62                            // 000000010750: D1D3003E 04FB0782
	v_max3_f32 v62, v132, v133, v62                            // 000000010758: D1D3003E 04FB0B84
	v_max3_f32 v62, v134, v135, v62                            // 000000010760: D1D3003E 04FB0F86
	v_max3_f32 v62, v136, v137, v62                            // 000000010768: D1D3003E 04FB1388
	v_max3_f32 v62, v138, v139, v62                            // 000000010770: D1D3003E 04FB178A
	v_max3_f32 v62, v140, v141, v62                            // 000000010778: D1D3003E 04FB1B8C
	v_max3_f32 v62, v142, v143, v62                            // 000000010780: D1D3003E 04FB1F8E
	ds_write_b32 v11, v62 offset:16896                         // 000000010788: D81A4200 00003E0B
	v_mul_u32_u24_dpp v41, v20, v68 row_newbcast:1 row_mask:0xf bank_mask:0xf// 000000010790: 105288FA FF015114
	v_mul_u32_u24_dpp v42, v20, v68 row_newbcast:5 row_mask:0xf bank_mask:0xf// 000000010798: 105488FA FF015514
	v_mul_u32_u24_dpp v43, v20, v68 row_newbcast:9 row_mask:0xf bank_mask:0xf// 0000000107A0: 105688FA FF015914
	v_mul_u32_u24_dpp v44, v20, v68 row_newbcast:13 row_mask:0xf bank_mask:0xf// 0000000107A8: 105888FA FF015D14
	v_add_u32_e32 v37, v41, v7                                 // 0000000107B0: 684A0F29
	v_add_u32_e32 v38, v42, v7                                 // 0000000107B4: 684C0F2A
	v_add_u32_e32 v39, v43, v7                                 // 0000000107B8: 684E0F2B
	v_add_u32_e32 v40, v44, v7                                 // 0000000107BC: 68500F2C
	v_mul_f32_e32 v224, v63, v224                              // 0000000107C0: 0BC1C13F
	v_mul_f32_e32 v225, v63, v225                              // 0000000107C4: 0BC3C33F
	v_mul_f32_e32 v226, v63, v226                              // 0000000107C8: 0BC5C53F
	v_mul_f32_e32 v227, v63, v227                              // 0000000107CC: 0BC7C73F
	v_mul_f32_e32 v228, v63, v228                              // 0000000107D0: 0BC9C93F
	v_mul_f32_e32 v229, v63, v229                              // 0000000107D4: 0BCBCB3F
	v_mul_f32_e32 v230, v63, v230                              // 0000000107D8: 0BCDCD3F
	v_mul_f32_e32 v231, v63, v231                              // 0000000107DC: 0BCFCF3F
	s_waitcnt lgkmcnt(0)                                       // 0000000107E0: BF8CC07F
	s_barrier                                                  // 0000000107E4: BF8A0000
	ds_read_b32 v80, v10 offset:16896                          // 0000000107E8: D86C4200 5000000A
	ds_read_b32 v81, v10 offset:16960                          // 0000000107F0: D86C4240 5100000A
	ds_read_b32 v82, v10 offset:17024                          // 0000000107F8: D86C4280 5200000A
	ds_read_b32 v83, v10 offset:17088                          // 000000010800: D86C42C0 5300000A
	ds_read_b32 v84, v10 offset:17152                          // 000000010808: D86C4300 5400000A
	ds_read_b32 v85, v10 offset:17216                          // 000000010810: D86C4340 5500000A
	ds_read_b32 v86, v10 offset:17280                          // 000000010818: D86C4380 5600000A
	ds_read_b32 v87, v10 offset:17344                          // 000000010820: D86C43C0 5700000A
	ds_read_b32 v88, v10 offset:17408                          // 000000010828: D86C4400 5800000A
	ds_read_b32 v89, v10 offset:17472                          // 000000010830: D86C4440 5900000A
	ds_read_b32 v90, v10 offset:17536                          // 000000010838: D86C4480 5A00000A
	ds_read_b32 v91, v10 offset:17600                          // 000000010840: D86C44C0 5B00000A
	ds_read_b32 v92, v10 offset:17664                          // 000000010848: D86C4500 5C00000A
	ds_read_b32 v93, v10 offset:17728                          // 000000010850: D86C4540 5D00000A
	ds_read_b32 v94, v10 offset:17792                          // 000000010858: D86C4580 5E00000A
	ds_read_b32 v95, v10 offset:17856                          // 000000010860: D86C45C0 5F00000A
	v_mul_f32_e32 v192, v58, v192                              // 000000010868: 0B81813A
	v_mul_f32_e32 v193, v58, v193                              // 00000001086C: 0B83833A
	v_mul_f32_e32 v194, v58, v194                              // 000000010870: 0B85853A
	v_mul_f32_e32 v195, v58, v195                              // 000000010874: 0B87873A
	v_mul_f32_e32 v196, v58, v196                              // 000000010878: 0B89893A
	v_mul_f32_e32 v197, v58, v197                              // 00000001087C: 0B8B8B3A
	v_mul_f32_e32 v198, v58, v198                              // 000000010880: 0B8D8D3A
	v_mul_f32_e32 v199, v58, v199                              // 000000010884: 0B8F8F3A
	s_waitcnt lgkmcnt(0)                                       // 000000010888: BF8CC07F
	v_max3_f32 v62, v80, v81, v62                              // 00000001088C: D1D3003E 04FAA350
	v_max3_f32 v62, v82, v83, v62                              // 000000010894: D1D3003E 04FAA752
	v_max3_f32 v62, v84, v85, v62                              // 00000001089C: D1D3003E 04FAAB54
	v_max3_f32 v62, v86, v87, v62                              // 0000000108A4: D1D3003E 04FAAF56
	v_max3_f32 v62, v88, v89, v62                              // 0000000108AC: D1D3003E 04FAB358
	v_max3_f32 v62, v90, v91, v62                              // 0000000108B4: D1D3003E 04FAB75A
	v_max3_f32 v62, v92, v93, v62                              // 0000000108BC: D1D3003E 04FABB5C
	v_max3_f32 v62, v94, v95, v62                              // 0000000108C4: D1D3003E 04FABF5E
	v_mov_b32_e32 v41, 0xff800000                              // 0000000108CC: 7E5202FF FF800000
	v_cmp_eq_u32_e64 s[40:41], v41, v14                        // 0000000108D4: D0CA0028 00021D29
	s_nop 1                                                    // 0000000108DC: BF800001
	v_max_f32_e32 v18, v62, v14                                // 0000000108E0: 16241D3E
	v_mul_f32_e32 v67, s64, v18                                // 0000000108E4: 0A862440
	v_fma_f32 v128, v128, s64, -v67                            // 0000000108E8: D1CB0080 850C8180
	v_fma_f32 v129, v129, s64, -v67                            // 0000000108F0: D1CB0081 850C8181
	v_fma_f32 v130, v130, s64, -v67                            // 0000000108F8: D1CB0082 850C8182
	v_fma_f32 v131, v131, s64, -v67                            // 000000010900: D1CB0083 850C8183
	v_fma_f32 v132, v132, s64, -v67                            // 000000010908: D1CB0084 850C8184
	v_fma_f32 v133, v133, s64, -v67                            // 000000010910: D1CB0085 850C8185
	v_fma_f32 v134, v134, s64, -v67                            // 000000010918: D1CB0086 850C8186
	v_fma_f32 v135, v135, s64, -v67                            // 000000010920: D1CB0087 850C8187
	v_fma_f32 v136, v136, s64, -v67                            // 000000010928: D1CB0088 850C8188
	v_fma_f32 v137, v137, s64, -v67                            // 000000010930: D1CB0089 850C8189
	v_fma_f32 v138, v138, s64, -v67                            // 000000010938: D1CB008A 850C818A
	v_fma_f32 v139, v139, s64, -v67                            // 000000010940: D1CB008B 850C818B
	v_fma_f32 v140, v140, s64, -v67                            // 000000010948: D1CB008C 850C818C
	v_fma_f32 v141, v141, s64, -v67                            // 000000010950: D1CB008D 850C818D
	v_fma_f32 v142, v142, s64, -v67                            // 000000010958: D1CB008E 850C818E
	v_fma_f32 v143, v143, s64, -v67                            // 000000010960: D1CB008F 850C818F
	v_exp_f32_e32 v128, v128                                   // 000000010968: 7F004180
	v_exp_f32_e32 v129, v129                                   // 00000001096C: 7F024181
	v_exp_f32_e32 v130, v130                                   // 000000010970: 7F044182
	v_exp_f32_e32 v131, v131                                   // 000000010974: 7F064183
	v_exp_f32_e32 v132, v132                                   // 000000010978: 7F084184
	v_exp_f32_e32 v133, v133                                   // 00000001097C: 7F0A4185
	v_exp_f32_e32 v134, v134                                   // 000000010980: 7F0C4186
	v_exp_f32_e32 v135, v135                                   // 000000010984: 7F0E4187
	v_exp_f32_e32 v136, v136                                   // 000000010988: 7F104188
	v_exp_f32_e32 v137, v137                                   // 00000001098C: 7F124189
	v_exp_f32_e32 v138, v138                                   // 000000010990: 7F14418A
	v_exp_f32_e32 v139, v139                                   // 000000010994: 7F16418B
	v_exp_f32_e32 v140, v140                                   // 000000010998: 7F18418C
	v_exp_f32_e32 v141, v141                                   // 00000001099C: 7F1A418D
	v_exp_f32_e32 v142, v142                                   // 0000000109A0: 7F1C418E
	v_exp_f32_e32 v143, v143                                   // 0000000109A4: 7F1E418F
	v_mul_f32_dpp v240, v252, v128 quad_perm:[0,0,0,0] row_mask:0xf bank_mask:0xf// 0000000109A8: 0BE100FA FF0000FC
	v_mul_f32_dpp v241, v252, v129 quad_perm:[1,1,1,1] row_mask:0xf bank_mask:0xf// 0000000109B0: 0BE302FA FF0055FC
	v_mul_f32_dpp v242, v252, v130 quad_perm:[2,2,2,2] row_mask:0xf bank_mask:0xf// 0000000109B8: 0BE504FA FF00AAFC
	v_mul_f32_dpp v243, v252, v131 quad_perm:[3,3,3,3] row_mask:0xf bank_mask:0xf// 0000000109C0: 0BE706FA FF00FFFC
	v_mul_f32_dpp v244, v253, v132 quad_perm:[0,0,0,0] row_mask:0xf bank_mask:0xf// 0000000109C8: 0BE908FA FF0000FD
	v_mul_f32_dpp v245, v253, v133 quad_perm:[1,1,1,1] row_mask:0xf bank_mask:0xf// 0000000109D0: 0BEB0AFA FF0055FD
	v_mul_f32_dpp v246, v253, v134 quad_perm:[2,2,2,2] row_mask:0xf bank_mask:0xf// 0000000109D8: 0BED0CFA FF00AAFD
	v_mul_f32_dpp v247, v253, v135 quad_perm:[3,3,3,3] row_mask:0xf bank_mask:0xf// 0000000109E0: 0BEF0EFA FF00FFFD
	v_mul_f32_dpp v248, v254, v136 quad_perm:[0,0,0,0] row_mask:0xf bank_mask:0xf// 0000000109E8: 0BF110FA FF0000FE
	v_mul_f32_dpp v249, v254, v137 quad_perm:[1,1,1,1] row_mask:0xf bank_mask:0xf// 0000000109F0: 0BF312FA FF0055FE
	v_mul_f32_dpp v250, v254, v138 quad_perm:[2,2,2,2] row_mask:0xf bank_mask:0xf// 0000000109F8: 0BF514FA FF00AAFE
	v_mul_f32_dpp v251, v254, v139 quad_perm:[3,3,3,3] row_mask:0xf bank_mask:0xf// 000000010A00: 0BF716FA FF00FFFE
	v_mul_f32_dpp v252, v255, v140 quad_perm:[0,0,0,0] row_mask:0xf bank_mask:0xf// 000000010A08: 0BF918FA FF0000FF
	v_mul_f32_dpp v253, v255, v141 quad_perm:[1,1,1,1] row_mask:0xf bank_mask:0xf// 000000010A10: 0BFB1AFA FF0055FF
	v_mul_f32_dpp v254, v255, v142 quad_perm:[2,2,2,2] row_mask:0xf bank_mask:0xf// 000000010A18: 0BFD1CFA FF00AAFF
	v_mul_f32_dpp v255, v255, v143 quad_perm:[3,3,3,3] row_mask:0xf bank_mask:0xf// 000000010A20: 0BFF1EFA FF00FFFF
	v_mov_b32_e32 v62, 0x358637bd                              // 000000010A28: 7E7C02FF 358637BD
	v_max3_f32 v62, |v240|, |v241|, v62                        // 000000010A30: D1D3033E 04FBE3F0
	v_max3_f32 v62, |v242|, |v243|, v62                        // 000000010A38: D1D3033E 04FBE7F2
	v_max3_f32 v62, |v244|, |v245|, v62                        // 000000010A40: D1D3033E 04FBEBF4
	v_max3_f32 v62, |v246|, |v247|, v62                        // 000000010A48: D1D3033E 04FBEFF6
	v_max3_f32 v62, |v248|, |v249|, v62                        // 000000010A50: D1D3033E 04FBF3F8
	v_max3_f32 v62, |v250|, |v251|, v62                        // 000000010A58: D1D3033E 04FBF7FA
	v_max3_f32 v62, |v252|, |v253|, v62                        // 000000010A60: D1D3033E 04FBFBFC
	v_max3_f32 v62, |v254|, |v255|, v62                        // 000000010A68: D1D3033E 04FBFFFE
	ds_write_b32 v11, v62 offset:20992                         // 000000010A70: D81A5200 00003E0B
	v_sub_f32_e32 v63, v14, v18                                // 000000010A78: 047E250E
	v_cndmask_b32_e64 v63, v63, 0, s[40:41]                    // 000000010A7C: D100003F 00A1013F
	v_mov_b32_e32 v14, v18                                     // 000000010A84: 7E1C0312
	v_mul_f32_e32 v63, s64, v63                                // 000000010A88: 0A7E7E40
	v_exp_f32_e32 v63, v63                                     // 000000010A8C: 7E7E413F
	s_waitcnt lgkmcnt(0)                                       // 000000010A90: BF8CC07F
	s_barrier                                                  // 000000010A94: BF8A0000
	ds_read_b32 v80, v10 offset:20992                          // 000000010A98: D86C5200 5000000A
	ds_read_b32 v81, v10 offset:21056                          // 000000010AA0: D86C5240 5100000A
	ds_read_b32 v82, v10 offset:21120                          // 000000010AA8: D86C5280 5200000A
	ds_read_b32 v83, v10 offset:21184                          // 000000010AB0: D86C52C0 5300000A
	ds_read_b32 v84, v10 offset:21248                          // 000000010AB8: D86C5300 5400000A
	ds_read_b32 v85, v10 offset:21312                          // 000000010AC0: D86C5340 5500000A
	ds_read_b32 v86, v10 offset:21376                          // 000000010AC8: D86C5380 5600000A
	ds_read_b32 v87, v10 offset:21440                          // 000000010AD0: D86C53C0 5700000A
	ds_read_b32 v88, v10 offset:21504                          // 000000010AD8: D86C5400 5800000A
	ds_read_b32 v89, v10 offset:21568                          // 000000010AE0: D86C5440 5900000A
	ds_read_b32 v90, v10 offset:21632                          // 000000010AE8: D86C5480 5A00000A
	ds_read_b32 v91, v10 offset:21696                          // 000000010AF0: D86C54C0 5B00000A
	ds_read_b32 v92, v10 offset:21760                          // 000000010AF8: D86C5500 5C00000A
	ds_read_b32 v93, v10 offset:21824                          // 000000010B00: D86C5540 5D00000A
	ds_read_b32 v94, v10 offset:21888                          // 000000010B08: D86C5580 5E00000A
	ds_read_b32 v95, v10 offset:21952                          // 000000010B10: D86C55C0 5F00000A
	v_mul_f32_e32 v47, v63, v47                                // 000000010B18: 0A5E5F3F
	v_mov_b32_e32 v18, v128                                    // 000000010B1C: 7E240380
	v_add_f32_e32 v18, v129, v18                               // 000000010B20: 02242581
	v_add_f32_e32 v18, v130, v18                               // 000000010B24: 02242582
	v_add_f32_e32 v18, v131, v18                               // 000000010B28: 02242583
	v_add_f32_e32 v18, v132, v18                               // 000000010B2C: 02242584
	v_add_f32_e32 v18, v133, v18                               // 000000010B30: 02242585
	v_add_f32_e32 v18, v134, v18                               // 000000010B34: 02242586
	v_add_f32_e32 v18, v135, v18                               // 000000010B38: 02242587
	v_add_f32_e32 v18, v136, v18                               // 000000010B3C: 02242588
	v_add_f32_e32 v18, v137, v18                               // 000000010B40: 02242589
	v_add_f32_e32 v18, v138, v18                               // 000000010B44: 0224258A
	v_add_f32_e32 v18, v139, v18                               // 000000010B48: 0224258B
	v_add_f32_e32 v18, v140, v18                               // 000000010B4C: 0224258C
	v_add_f32_e32 v18, v141, v18                               // 000000010B50: 0224258D
	v_add_f32_e32 v18, v142, v18                               // 000000010B54: 0224258E
	v_add_f32_e32 v18, v143, v18                               // 000000010B58: 0224258F
	v_add_f32_e32 v47, v18, v47                                // 000000010B5C: 025E5F12
	s_waitcnt lgkmcnt(0)                                       // 000000010B60: BF8CC07F
	v_max3_f32 v62, |v80|, |v81|, v62                          // 000000010B64: D1D3033E 04FAA350
	v_max3_f32 v62, |v82|, |v83|, v62                          // 000000010B6C: D1D3033E 04FAA752
	v_max3_f32 v62, |v84|, |v85|, v62                          // 000000010B74: D1D3033E 04FAAB54
	v_max3_f32 v62, |v86|, |v87|, v62                          // 000000010B7C: D1D3033E 04FAAF56
	v_max3_f32 v62, |v88|, |v89|, v62                          // 000000010B84: D1D3033E 04FAB358
	v_max3_f32 v62, |v90|, |v91|, v62                          // 000000010B8C: D1D3033E 04FAB75A
	v_max3_f32 v62, |v92|, |v93|, v62                          // 000000010B94: D1D3033E 04FABB5C
	v_max3_f32 v62, |v94|, |v95|, v62                          // 000000010B9C: D1D3033E 04FABF5E
	s_nop 2                                                    // 000000010BA4: BF800002
	v_rcp_f32_e32 v62, v62                                     // 000000010BA8: 7E7C453E
	s_nop 1                                                    // 000000010BAC: BF800001
	v_mul_f32_e32 v62, 0x43e00000, v62                         // 000000010BB0: 0A7C7CFF 43E00000
	v_mul_f32_e32 v128, v62, v240                              // 000000010BB8: 0B01E13E
	v_mul_f32_e32 v129, v62, v241                              // 000000010BBC: 0B03E33E
	v_mul_f32_e32 v130, v62, v242                              // 000000010BC0: 0B05E53E
	v_mul_f32_e32 v131, v62, v243                              // 000000010BC4: 0B07E73E
	v_mul_f32_e32 v132, v62, v244                              // 000000010BC8: 0B09E93E
	v_mul_f32_e32 v133, v62, v245                              // 000000010BCC: 0B0BEB3E
	v_mul_f32_e32 v134, v62, v246                              // 000000010BD0: 0B0DED3E
	v_mul_f32_e32 v135, v62, v247                              // 000000010BD4: 0B0FEF3E
	v_mul_f32_e32 v136, v62, v248                              // 000000010BD8: 0B11F13E
	v_mul_f32_e32 v137, v62, v249                              // 000000010BDC: 0B13F33E
	v_mul_f32_e32 v138, v62, v250                              // 000000010BE0: 0B15F53E
	v_mul_f32_e32 v139, v62, v251                              // 000000010BE4: 0B17F73E
	v_mul_f32_e32 v140, v62, v252                              // 000000010BE8: 0B19F93E
	v_mul_f32_e32 v141, v62, v253                              // 000000010BEC: 0B1BFB3E
	v_mul_f32_e32 v142, v62, v254                              // 000000010BF0: 0B1DFD3E
	v_mul_f32_e32 v143, v62, v255                              // 000000010BF4: 0B1FFF3E
	v_cvt_pk_fp8_f32 v128, v128, v129                          // 000000010BF8: D2A20080 00030380
	v_cvt_pk_fp8_f32 v128, v130, v131 op_sel:[0,0,1]           // 000000010C00: D2A24080 00030782
	v_cvt_pk_fp8_f32 v129, v132, v133                          // 000000010C08: D2A20081 00030B84
	v_cvt_pk_fp8_f32 v129, v134, v135 op_sel:[0,0,1]           // 000000010C10: D2A24081 00030F86
	v_cvt_pk_fp8_f32 v130, v136, v137                          // 000000010C18: D2A20082 00031388
	v_cvt_pk_fp8_f32 v130, v138, v139 op_sel:[0,0,1]           // 000000010C20: D2A24082 0003178A
	v_cvt_pk_fp8_f32 v131, v140, v141                          // 000000010C28: D2A20083 00031B8C
	v_cvt_pk_fp8_f32 v131, v142, v143 op_sel:[0,0,1]           // 000000010C30: D2A24083 00031F8E
	ds_write_b32 v13, v128 offset:25088                        // 000000010C38: D81A6200 0000800D
	ds_write_b32 v13, v129 offset:26112                        // 000000010C40: D81A6600 0000810D
	ds_write_b32 v13, v130 offset:27136                        // 000000010C48: D81A6A00 0000820D
	ds_write_b32 v13, v131 offset:28160                        // 000000010C50: D81A6E00 0000830D
	v_add_f32_e32 v224, v224, v192                             // 000000010C58: 03C181E0
	v_add_f32_e32 v225, v225, v193                             // 000000010C5C: 03C383E1
	v_add_f32_e32 v226, v226, v194                             // 000000010C60: 03C585E2
	v_add_f32_e32 v227, v227, v195                             // 000000010C64: 03C787E3
	v_add_f32_e32 v228, v228, v196                             // 000000010C68: 03C989E4
	v_add_f32_e32 v229, v229, v197                             // 000000010C6C: 03CB8BE5
	v_add_f32_e32 v230, v230, v198                             // 000000010C70: 03CD8DE6
	v_add_f32_e32 v231, v231, v199                             // 000000010C74: 03CF8FE7
	v_rcp_f32_e32 v58, v62                                     // 000000010C78: 7E74453E
	s_waitcnt lgkmcnt(0)                                       // 000000010C7C: BF8CC07F
	s_barrier                                                  // 000000010C80: BF8A0000
	ds_read_b64 v[128:129], v12 offset:25088                   // 000000010C84: D8EC6200 8000000C
	ds_read_b64 v[130:131], v12 offset:25216                   // 000000010C8C: D8EC6280 8200000C
	ds_read_b64 v[132:133], v12 offset:26112                   // 000000010C94: D8EC6600 8400000C
	ds_read_b64 v[134:135], v12 offset:26240                   // 000000010C9C: D8EC6680 8600000C
	ds_read_b64 v[136:137], v12 offset:27136                   // 000000010CA4: D8EC6A00 8800000C
	ds_read_b64 v[138:139], v12 offset:27264                   // 000000010CAC: D8EC6A80 8A00000C
	ds_read_b64 v[140:141], v12 offset:28160                   // 000000010CB4: D8EC6E00 8C00000C
	ds_read_b64 v[142:143], v12 offset:28288                   // 000000010CBC: D8EC6E80 8E00000C
	v_mov_b32_dpp v41, v52 row_shr:4 row_mask:0xf bank_mask:0xf// 000000010CC4: 7E5202FA FF011434
	v_mov_b32_dpp v42, v52 row_shl:4 row_mask:0xf bank_mask:0xf// 000000010CCC: 7E5402FA FF010434
	v_cndmask_b32_e64 v248, v52, v41, s[44:45]                 // 000000010CD4: D10000F8 00B25334
	v_cndmask_b32_e64 v249, v42, v52, s[44:45]                 // 000000010CDC: D10000F9 00B2692A
	v_mov_b32_dpp v41, v248 row_shr:8 row_mask:0xf bank_mask:0xf// 000000010CE4: 7E5202FA FF0118F8
	v_mov_b32_dpp v42, v248 row_shl:8 row_mask:0xf bank_mask:0xf// 000000010CEC: 7E5402FA FF0108F8
	v_mov_b32_dpp v43, v249 row_shr:8 row_mask:0xf bank_mask:0xf// 000000010CF4: 7E5602FA FF0118F9
	v_mov_b32_dpp v44, v249 row_shl:8 row_mask:0xf bank_mask:0xf// 000000010CFC: 7E5802FA FF0108F9
	v_mov_b32_e32 v45, v248                                    // 000000010D04: 7E5A03F8
	v_mov_b32_e32 v46, v249                                    // 000000010D08: 7E5C03F9
	v_cndmask_b32_e64 v248, v45, v41, s[42:43]                 // 000000010D0C: D10000F8 00AA532D
	v_cndmask_b32_e64 v250, v45, v42, s[78:79]                 // 000000010D14: D10000FA 013A552D
	v_cndmask_b32_e64 v249, v46, v43, s[42:43]                 // 000000010D1C: D10000F9 00AA572E
	v_cndmask_b32_e64 v251, v46, v44, s[78:79]                 // 000000010D24: D10000FB 013A592E
	v_mov_b32_dpp v41, v72 row_shr:4 row_mask:0xf bank_mask:0xf// 000000010D2C: 7E5202FA FF011448
	v_mov_b32_dpp v42, v72 row_shl:4 row_mask:0xf bank_mask:0xf// 000000010D34: 7E5402FA FF010448
	v_cndmask_b32_e64 v252, v72, v41, s[44:45]                 // 000000010D3C: D10000FC 00B25348
	v_cndmask_b32_e64 v253, v42, v72, s[44:45]                 // 000000010D44: D10000FD 00B2912A
	v_mov_b32_dpp v41, v252 row_shr:8 row_mask:0xf bank_mask:0xf// 000000010D4C: 7E5202FA FF0118FC
	v_mov_b32_dpp v42, v252 row_shl:8 row_mask:0xf bank_mask:0xf// 000000010D54: 7E5402FA FF0108FC
	v_mov_b32_dpp v43, v253 row_shr:8 row_mask:0xf bank_mask:0xf// 000000010D5C: 7E5602FA FF0118FD
	v_mov_b32_dpp v44, v253 row_shl:8 row_mask:0xf bank_mask:0xf// 000000010D64: 7E5802FA FF0108FD
	v_mov_b32_e32 v45, v252                                    // 000000010D6C: 7E5A03FC
	v_mov_b32_e32 v46, v253                                    // 000000010D70: 7E5C03FD
	v_cndmask_b32_e64 v252, v45, v41, s[42:43]                 // 000000010D74: D10000FC 00AA532D
	v_cndmask_b32_e64 v254, v45, v42, s[78:79]                 // 000000010D7C: D10000FE 013A552D
	v_cndmask_b32_e64 v253, v46, v43, s[42:43]                 // 000000010D84: D10000FD 00AA572E
	v_cndmask_b32_e64 v255, v46, v44, s[78:79]                 // 000000010D8C: D10000FF 013A592E
	v_mul_f32_e32 v144, v55, v144                              // 000000010D94: 0B212137
	v_mul_f32_e32 v145, v55, v145                              // 000000010D98: 0B232337
	v_mul_f32_e32 v146, v55, v146                              // 000000010D9C: 0B252537
	v_mul_f32_e32 v147, v55, v147                              // 000000010DA0: 0B272737
	v_mul_f32_e32 v148, v55, v148                              // 000000010DA4: 0B292937
	v_mul_f32_e32 v149, v55, v149                              // 000000010DA8: 0B2B2B37
	v_mul_f32_e32 v150, v55, v150                              // 000000010DAC: 0B2D2D37
	v_mul_f32_e32 v151, v55, v151                              // 000000010DB0: 0B2F2F37
	v_mul_f32_e32 v152, v55, v152                              // 000000010DB4: 0B313137
	v_mul_f32_e32 v153, v55, v153                              // 000000010DB8: 0B333337
	v_mul_f32_e32 v154, v55, v154                              // 000000010DBC: 0B353537
	v_mul_f32_e32 v155, v55, v155                              // 000000010DC0: 0B373737
	v_mul_f32_e32 v156, v55, v156                              // 000000010DC4: 0B393937
	v_mul_f32_e32 v157, v55, v157                              // 000000010DC8: 0B3B3B37
	v_mul_f32_e32 v158, v55, v158                              // 000000010DCC: 0B3D3D37
	v_mul_f32_e32 v159, v55, v159                              // 000000010DD0: 0B3F3F37
	v_mul_f32_dpp v144, v248, v144 quad_perm:[0,0,0,0] row_mask:0xf bank_mask:0xf// 000000010DD4: 0B2120FA FF0000F8
	v_mul_f32_dpp v145, v248, v145 quad_perm:[1,1,1,1] row_mask:0xf bank_mask:0xf// 000000010DDC: 0B2322FA FF0055F8
	v_mul_f32_dpp v146, v248, v146 quad_perm:[2,2,2,2] row_mask:0xf bank_mask:0xf// 000000010DE4: 0B2524FA FF00AAF8
	v_mul_f32_dpp v147, v248, v147 quad_perm:[3,3,3,3] row_mask:0xf bank_mask:0xf// 000000010DEC: 0B2726FA FF00FFF8
	v_mul_f32_dpp v148, v249, v148 quad_perm:[0,0,0,0] row_mask:0xf bank_mask:0xf// 000000010DF4: 0B2928FA FF0000F9
	v_mul_f32_dpp v149, v249, v149 quad_perm:[1,1,1,1] row_mask:0xf bank_mask:0xf// 000000010DFC: 0B2B2AFA FF0055F9
	v_mul_f32_dpp v150, v249, v150 quad_perm:[2,2,2,2] row_mask:0xf bank_mask:0xf// 000000010E04: 0B2D2CFA FF00AAF9
	v_mul_f32_dpp v151, v249, v151 quad_perm:[3,3,3,3] row_mask:0xf bank_mask:0xf// 000000010E0C: 0B2F2EFA FF00FFF9
	v_mul_f32_dpp v152, v250, v152 quad_perm:[0,0,0,0] row_mask:0xf bank_mask:0xf// 000000010E14: 0B3130FA FF0000FA
	v_mul_f32_dpp v153, v250, v153 quad_perm:[1,1,1,1] row_mask:0xf bank_mask:0xf// 000000010E1C: 0B3332FA FF0055FA
	v_mul_f32_dpp v154, v250, v154 quad_perm:[2,2,2,2] row_mask:0xf bank_mask:0xf// 000000010E24: 0B3534FA FF00AAFA
	v_mul_f32_dpp v155, v250, v155 quad_perm:[3,3,3,3] row_mask:0xf bank_mask:0xf// 000000010E2C: 0B3736FA FF00FFFA
	v_mul_f32_dpp v156, v251, v156 quad_perm:[0,0,0,0] row_mask:0xf bank_mask:0xf// 000000010E34: 0B3938FA FF0000FB
	v_mul_f32_dpp v157, v251, v157 quad_perm:[1,1,1,1] row_mask:0xf bank_mask:0xf// 000000010E3C: 0B3B3AFA FF0055FB
	v_mul_f32_dpp v158, v251, v158 quad_perm:[2,2,2,2] row_mask:0xf bank_mask:0xf// 000000010E44: 0B3D3CFA FF00AAFB
	v_mul_f32_dpp v159, v251, v159 quad_perm:[3,3,3,3] row_mask:0xf bank_mask:0xf// 000000010E4C: 0B3F3EFA FF00FFFB
	s_cmp_le_i32 s90, s89                                      // 000000010E54: BF05595A
	s_cbranch_scc1 label_3B8A                                  // 000000010E58: BF850073
	v_mov_b32_e32 v69, 0xff800000                              // 000000010E5C: 7E8A02FF FF800000
	s_mov_b32 s60, s90                                         // 000000010E64: BEBC005A
	s_add_u32 s61, s89, 0xff                                   // 000000010E68: 803DFF59 000000FF
	v_mov_b32_e32 v41, s61                                     // 000000010E70: 7E52023D
	v_lshrrev_b32_e32 v240, 4, v0                              // 000000010E74: 21E00084
	v_mul_i32_i24_e32 v240, 4, v240                            // 000000010E78: 0DE1E084
	v_add_u32_e32 v240, s60, v240                              // 000000010E7C: 69E1E03C
	v_and_b32_e32 v42, 15, v0                                  // 000000010E80: 2654008F
	v_lshrrev_b32_e32 v42, 3, v42                              // 000000010E84: 20545483
	s_mov_b32 s61, 2                                           // 000000010E88: BEBD0082
	s_mul_i32 s60, 16, s7                                      // 000000010E8C: 923C0790
	v_add_u32_e32 v42, s61, v42                                // 000000010E90: 6854543D
	v_sub_u32_e32 v240, v240, v42                              // 000000010E94: 6BE055F0
	v_add_u32_e32 v240, s60, v240                              // 000000010E98: 69E1E03C
	v_add_u32_e32 v241, 1, v240                                // 000000010E9C: 69E3E081
	v_add_u32_e32 v242, 2, v240                                // 000000010EA0: 69E5E082
	v_add_u32_e32 v243, 3, v240                                // 000000010EA4: 69E7E083
	v_cmp_le_u32_e64 s[40:41], v240, v41                       // 000000010EA8: D0CB0028 000253F0
	v_add_u32_e32 v240, 64, v240                               // 000000010EB0: 69E1E0C0
	s_nop 0                                                    // 000000010EB4: BF800000
	v_cndmask_b32_e64 v144, v69, v144, s[40:41]                // 000000010EB8: D1000090 00A32145
	v_cmp_le_u32_e64 s[40:41], v241, v41                       // 000000010EC0: D0CB0028 000253F1
	v_add_u32_e32 v241, 64, v241                               // 000000010EC8: 69E3E2C0
	s_nop 0                                                    // 000000010ECC: BF800000
	v_cndmask_b32_e64 v145, v69, v145, s[40:41]                // 000000010ED0: D1000091 00A32345
	v_cmp_le_u32_e64 s[40:41], v242, v41                       // 000000010ED8: D0CB0028 000253F2
	v_add_u32_e32 v242, 64, v242                               // 000000010EE0: 69E5E4C0
	s_nop 0                                                    // 000000010EE4: BF800000
	v_cndmask_b32_e64 v146, v69, v146, s[40:41]                // 000000010EE8: D1000092 00A32545
	v_cmp_le_u32_e64 s[40:41], v243, v41                       // 000000010EF0: D0CB0028 000253F3
	v_add_u32_e32 v243, 64, v243                               // 000000010EF8: 69E7E6C0
	s_nop 0                                                    // 000000010EFC: BF800000
	v_cndmask_b32_e64 v147, v69, v147, s[40:41]                // 000000010F00: D1000093 00A32745
	v_cmp_le_u32_e64 s[40:41], v240, v41                       // 000000010F08: D0CB0028 000253F0
	v_add_u32_e32 v240, 64, v240                               // 000000010F10: 69E1E0C0
	s_nop 0                                                    // 000000010F14: BF800000
	v_cndmask_b32_e64 v148, v69, v148, s[40:41]                // 000000010F18: D1000094 00A32945
	v_cmp_le_u32_e64 s[40:41], v241, v41                       // 000000010F20: D0CB0028 000253F1
	v_add_u32_e32 v241, 64, v241                               // 000000010F28: 69E3E2C0
	s_nop 0                                                    // 000000010F2C: BF800000
	v_cndmask_b32_e64 v149, v69, v149, s[40:41]                // 000000010F30: D1000095 00A32B45
	v_cmp_le_u32_e64 s[40:41], v242, v41                       // 000000010F38: D0CB0028 000253F2
	v_add_u32_e32 v242, 64, v242                               // 000000010F40: 69E5E4C0
	s_nop 0                                                    // 000000010F44: BF800000
	v_cndmask_b32_e64 v150, v69, v150, s[40:41]                // 000000010F48: D1000096 00A32D45
	v_cmp_le_u32_e64 s[40:41], v243, v41                       // 000000010F50: D0CB0028 000253F3
	v_add_u32_e32 v243, 64, v243                               // 000000010F58: 69E7E6C0
	s_nop 0                                                    // 000000010F5C: BF800000
	v_cndmask_b32_e64 v151, v69, v151, s[40:41]                // 000000010F60: D1000097 00A32F45
	v_cmp_le_u32_e64 s[40:41], v240, v41                       // 000000010F68: D0CB0028 000253F0
	v_add_u32_e32 v240, 64, v240                               // 000000010F70: 69E1E0C0
	s_nop 0                                                    // 000000010F74: BF800000
	v_cndmask_b32_e64 v152, v69, v152, s[40:41]                // 000000010F78: D1000098 00A33145
	v_cmp_le_u32_e64 s[40:41], v241, v41                       // 000000010F80: D0CB0028 000253F1
	v_add_u32_e32 v241, 64, v241                               // 000000010F88: 69E3E2C0
	s_nop 0                                                    // 000000010F8C: BF800000
	v_cndmask_b32_e64 v153, v69, v153, s[40:41]                // 000000010F90: D1000099 00A33345
	v_cmp_le_u32_e64 s[40:41], v242, v41                       // 000000010F98: D0CB0028 000253F2
	v_add_u32_e32 v242, 64, v242                               // 000000010FA0: 69E5E4C0
	s_nop 0                                                    // 000000010FA4: BF800000
	v_cndmask_b32_e64 v154, v69, v154, s[40:41]                // 000000010FA8: D100009A 00A33545
	v_cmp_le_u32_e64 s[40:41], v243, v41                       // 000000010FB0: D0CB0028 000253F3
	v_add_u32_e32 v243, 64, v243                               // 000000010FB8: 69E7E6C0
	s_nop 0                                                    // 000000010FBC: BF800000
	v_cndmask_b32_e64 v155, v69, v155, s[40:41]                // 000000010FC0: D100009B 00A33745
	v_cmp_le_u32_e64 s[40:41], v240, v41                       // 000000010FC8: D0CB0028 000253F0
	v_add_u32_e32 v240, 64, v240                               // 000000010FD0: 69E1E0C0
	s_nop 0                                                    // 000000010FD4: BF800000
	v_cndmask_b32_e64 v156, v69, v156, s[40:41]                // 000000010FD8: D100009C 00A33945
	v_cmp_le_u32_e64 s[40:41], v241, v41                       // 000000010FE0: D0CB0028 000253F1
	v_add_u32_e32 v241, 64, v241                               // 000000010FE8: 69E3E2C0
	s_nop 0                                                    // 000000010FEC: BF800000
	v_cndmask_b32_e64 v157, v69, v157, s[40:41]                // 000000010FF0: D100009D 00A33B45
	v_cmp_le_u32_e64 s[40:41], v242, v41                       // 000000010FF8: D0CB0028 000253F2
	v_add_u32_e32 v242, 64, v242                               // 000000011000: 69E5E4C0
	s_nop 0                                                    // 000000011004: BF800000
	v_cndmask_b32_e64 v158, v69, v158, s[40:41]                // 000000011008: D100009E 00A33D45
	v_cmp_le_u32_e64 s[40:41], v243, v41                       // 000000011010: D0CB0028 000253F3
	v_add_u32_e32 v243, 64, v243                               // 000000011018: 69E7E6C0
	s_nop 0                                                    // 00000001101C: BF800000
	v_cndmask_b32_e64 v159, v69, v159, s[40:41]                // 000000011020: D100009F 00A33F45

0000000000011028 <label_3B8A>:
	s_add_u32 s90, s91, s90                                    // 000000011028: 805A5A5B
	s_and_b32 s60, s72, 0xff                                   // 00000001102C: 863CFF48 000000FF
	v_mov_b32_e32 v42, s60                                     // 000000011034: 7E54023C
	v_lshrrev_b32_e32 v240, 4, v0                              // 000000011038: 21E00084
	v_mul_i32_i24_e32 v240, 4, v240                            // 00000001103C: 0DE1E084
	s_mul_i32 s60, s7, 16                                      // 000000011040: 923C9007
	v_add_u32_e32 v240, s60, v240                              // 000000011044: 69E1E03C
	v_add_u32_e32 v241, 1, v240                                // 000000011048: 69E3E081
	v_add_u32_e32 v242, 2, v240                                // 00000001104C: 69E5E082
	v_add_u32_e32 v243, 3, v240                                // 000000011050: 69E7E083
	v_mov_b32_e32 v41, 0xff800000                              // 000000011054: 7E5202FF FF800000
	v_cmp_lt_u32_e64 s[40:41], v240, v42                       // 00000001105C: D0C90028 000255F0
	v_add_u32_e32 v240, 64, v240                               // 000000011064: 69E1E0C0
	s_nop 0                                                    // 000000011068: BF800000
	v_cndmask_b32_e64 v144, v41, v144, s[40:41]                // 00000001106C: D1000090 00A32129
	v_cmp_lt_u32_e64 s[40:41], v241, v42                       // 000000011074: D0C90028 000255F1
	v_add_u32_e32 v241, 64, v241                               // 00000001107C: 69E3E2C0
	s_nop 0                                                    // 000000011080: BF800000
	v_cndmask_b32_e64 v145, v41, v145, s[40:41]                // 000000011084: D1000091 00A32329
	v_cmp_lt_u32_e64 s[40:41], v242, v42                       // 00000001108C: D0C90028 000255F2
	v_add_u32_e32 v242, 64, v242                               // 000000011094: 69E5E4C0
	s_nop 0                                                    // 000000011098: BF800000
	v_cndmask_b32_e64 v146, v41, v146, s[40:41]                // 00000001109C: D1000092 00A32529
	v_cmp_lt_u32_e64 s[40:41], v243, v42                       // 0000000110A4: D0C90028 000255F3
	v_add_u32_e32 v243, 64, v243                               // 0000000110AC: 69E7E6C0
	s_nop 0                                                    // 0000000110B0: BF800000
	v_cndmask_b32_e64 v147, v41, v147, s[40:41]                // 0000000110B4: D1000093 00A32729
	v_cmp_lt_u32_e64 s[40:41], v240, v42                       // 0000000110BC: D0C90028 000255F0
	v_add_u32_e32 v240, 64, v240                               // 0000000110C4: 69E1E0C0
	s_nop 0                                                    // 0000000110C8: BF800000
	v_cndmask_b32_e64 v148, v41, v148, s[40:41]                // 0000000110CC: D1000094 00A32929
	v_cmp_lt_u32_e64 s[40:41], v241, v42                       // 0000000110D4: D0C90028 000255F1
	v_add_u32_e32 v241, 64, v241                               // 0000000110DC: 69E3E2C0
	s_nop 0                                                    // 0000000110E0: BF800000
	v_cndmask_b32_e64 v149, v41, v149, s[40:41]                // 0000000110E4: D1000095 00A32B29
	v_cmp_lt_u32_e64 s[40:41], v242, v42                       // 0000000110EC: D0C90028 000255F2
	v_add_u32_e32 v242, 64, v242                               // 0000000110F4: 69E5E4C0
	s_nop 0                                                    // 0000000110F8: BF800000
	v_cndmask_b32_e64 v150, v41, v150, s[40:41]                // 0000000110FC: D1000096 00A32D29
	v_cmp_lt_u32_e64 s[40:41], v243, v42                       // 000000011104: D0C90028 000255F3
	v_add_u32_e32 v243, 64, v243                               // 00000001110C: 69E7E6C0
	s_nop 0                                                    // 000000011110: BF800000
	v_cndmask_b32_e64 v151, v41, v151, s[40:41]                // 000000011114: D1000097 00A32F29
	v_cmp_lt_u32_e64 s[40:41], v240, v42                       // 00000001111C: D0C90028 000255F0
	v_add_u32_e32 v240, 64, v240                               // 000000011124: 69E1E0C0
	s_nop 0                                                    // 000000011128: BF800000
	v_cndmask_b32_e64 v152, v41, v152, s[40:41]                // 00000001112C: D1000098 00A33129
	v_cmp_lt_u32_e64 s[40:41], v241, v42                       // 000000011134: D0C90028 000255F1
	v_add_u32_e32 v241, 64, v241                               // 00000001113C: 69E3E2C0
	s_nop 0                                                    // 000000011140: BF800000
	v_cndmask_b32_e64 v153, v41, v153, s[40:41]                // 000000011144: D1000099 00A33329
	v_cmp_lt_u32_e64 s[40:41], v242, v42                       // 00000001114C: D0C90028 000255F2
	v_add_u32_e32 v242, 64, v242                               // 000000011154: 69E5E4C0
	s_nop 0                                                    // 000000011158: BF800000
	v_cndmask_b32_e64 v154, v41, v154, s[40:41]                // 00000001115C: D100009A 00A33529
	v_cmp_lt_u32_e64 s[40:41], v243, v42                       // 000000011164: D0C90028 000255F3
	v_add_u32_e32 v243, 64, v243                               // 00000001116C: 69E7E6C0
	s_nop 0                                                    // 000000011170: BF800000
	v_cndmask_b32_e64 v155, v41, v155, s[40:41]                // 000000011174: D100009B 00A33729
	v_cmp_lt_u32_e64 s[40:41], v240, v42                       // 00000001117C: D0C90028 000255F0
	v_add_u32_e32 v240, 64, v240                               // 000000011184: 69E1E0C0
	s_nop 0                                                    // 000000011188: BF800000
	v_cndmask_b32_e64 v156, v41, v156, s[40:41]                // 00000001118C: D100009C 00A33929
	v_cmp_lt_u32_e64 s[40:41], v241, v42                       // 000000011194: D0C90028 000255F1
	v_add_u32_e32 v241, 64, v241                               // 00000001119C: 69E3E2C0
	s_nop 0                                                    // 0000000111A0: BF800000
	v_cndmask_b32_e64 v157, v41, v157, s[40:41]                // 0000000111A4: D100009D 00A33B29
	v_cmp_lt_u32_e64 s[40:41], v242, v42                       // 0000000111AC: D0C90028 000255F2
	v_add_u32_e32 v242, 64, v242                               // 0000000111B4: 69E5E4C0
	s_nop 0                                                    // 0000000111B8: BF800000
	v_cndmask_b32_e64 v158, v41, v158, s[40:41]                // 0000000111BC: D100009E 00A33D29
	v_cmp_lt_u32_e64 s[40:41], v243, v42                       // 0000000111C4: D0C90028 000255F3
	v_add_u32_e32 v243, 64, v243                               // 0000000111CC: 69E7E6C0
	s_nop 0                                                    // 0000000111D0: BF800000
	v_cndmask_b32_e64 v159, v41, v159, s[40:41]                // 0000000111D4: D100009F 00A33F29
	v_mov_b32_e32 v62, v144                                    // 0000000111DC: 7E7C0390
	v_max3_f32 v62, v144, v145, v62                            // 0000000111E0: D1D3003E 04FB2390
	v_max3_f32 v62, v146, v147, v62                            // 0000000111E8: D1D3003E 04FB2792
	v_max3_f32 v62, v148, v149, v62                            // 0000000111F0: D1D3003E 04FB2B94
	v_max3_f32 v62, v150, v151, v62                            // 0000000111F8: D1D3003E 04FB2F96
	v_max3_f32 v62, v152, v153, v62                            // 000000011200: D1D3003E 04FB3398
	v_max3_f32 v62, v154, v155, v62                            // 000000011208: D1D3003E 04FB379A
	v_max3_f32 v62, v156, v157, v62                            // 000000011210: D1D3003E 04FB3B9C
	v_max3_f32 v62, v158, v159, v62                            // 000000011218: D1D3003E 04FB3F9E
	ds_write_b32 v11, v62 offset:16896                         // 000000011220: D81A4200 00003E0B
	v_mul_f32_e32 v232, v64, v232                              // 000000011228: 0BD1D140
	v_mul_f32_e32 v233, v64, v233                              // 00000001122C: 0BD3D340
	v_mul_f32_e32 v234, v64, v234                              // 000000011230: 0BD5D540
	v_mul_f32_e32 v235, v64, v235                              // 000000011234: 0BD7D740
	v_mul_f32_e32 v236, v64, v236                              // 000000011238: 0BD9D940
	v_mul_f32_e32 v237, v64, v237                              // 00000001123C: 0BDBDB40
	v_mul_f32_e32 v238, v64, v238                              // 000000011240: 0BDDDD40
	v_mul_f32_e32 v239, v64, v239                              // 000000011244: 0BDFDF40
	s_waitcnt lgkmcnt(0)                                       // 000000011248: BF8CC07F
	s_barrier                                                  // 00000001124C: BF8A0000
	ds_read_b32 v80, v10 offset:16896                          // 000000011250: D86C4200 5000000A
	ds_read_b32 v81, v10 offset:16960                          // 000000011258: D86C4240 5100000A
	ds_read_b32 v82, v10 offset:17024                          // 000000011260: D86C4280 5200000A
	ds_read_b32 v83, v10 offset:17088                          // 000000011268: D86C42C0 5300000A
	ds_read_b32 v84, v10 offset:17152                          // 000000011270: D86C4300 5400000A
	ds_read_b32 v85, v10 offset:17216                          // 000000011278: D86C4340 5500000A
	ds_read_b32 v86, v10 offset:17280                          // 000000011280: D86C4380 5600000A
	ds_read_b32 v87, v10 offset:17344                          // 000000011288: D86C43C0 5700000A
	ds_read_b32 v88, v10 offset:17408                          // 000000011290: D86C4400 5800000A
	ds_read_b32 v89, v10 offset:17472                          // 000000011298: D86C4440 5900000A
	ds_read_b32 v90, v10 offset:17536                          // 0000000112A0: D86C4480 5A00000A
	ds_read_b32 v91, v10 offset:17600                          // 0000000112A8: D86C44C0 5B00000A
	ds_read_b32 v92, v10 offset:17664                          // 0000000112B0: D86C4500 5C00000A
	ds_read_b32 v93, v10 offset:17728                          // 0000000112B8: D86C4540 5D00000A
	ds_read_b32 v94, v10 offset:17792                          // 0000000112C0: D86C4580 5E00000A
	ds_read_b32 v95, v10 offset:17856                          // 0000000112C8: D86C45C0 5F00000A
	v_mul_f32_e32 v200, v59, v200                              // 0000000112D0: 0B91913B
	v_mul_f32_e32 v201, v59, v201                              // 0000000112D4: 0B93933B
	v_mul_f32_e32 v202, v59, v202                              // 0000000112D8: 0B95953B
	v_mul_f32_e32 v203, v59, v203                              // 0000000112DC: 0B97973B
	v_mul_f32_e32 v204, v59, v204                              // 0000000112E0: 0B99993B
	v_mul_f32_e32 v205, v59, v205                              // 0000000112E4: 0B9B9B3B
	v_mul_f32_e32 v206, v59, v206                              // 0000000112E8: 0B9D9D3B
	v_mul_f32_e32 v207, v59, v207                              // 0000000112EC: 0B9F9F3B
	s_waitcnt lgkmcnt(0)                                       // 0000000112F0: BF8CC07F
	v_max3_f32 v62, v80, v81, v62                              // 0000000112F4: D1D3003E 04FAA350
	v_max3_f32 v62, v82, v83, v62                              // 0000000112FC: D1D3003E 04FAA752
	v_max3_f32 v62, v84, v85, v62                              // 000000011304: D1D3003E 04FAAB54
	v_max3_f32 v62, v86, v87, v62                              // 00000001130C: D1D3003E 04FAAF56
	v_max3_f32 v62, v88, v89, v62                              // 000000011314: D1D3003E 04FAB358
	v_max3_f32 v62, v90, v91, v62                              // 00000001131C: D1D3003E 04FAB75A
	v_max3_f32 v62, v92, v93, v62                              // 000000011324: D1D3003E 04FABB5C
	v_max3_f32 v62, v94, v95, v62                              // 00000001132C: D1D3003E 04FABF5E
	v_mov_b32_e32 v41, 0xff800000                              // 000000011334: 7E5202FF FF800000
	v_cmp_eq_u32_e64 s[40:41], v41, v15                        // 00000001133C: D0CA0028 00021F29
	s_nop 1                                                    // 000000011344: BF800001
	v_max_f32_e32 v18, v62, v15                                // 000000011348: 16241F3E
	v_mul_f32_e32 v67, s64, v18                                // 00000001134C: 0A862440
	v_fma_f32 v144, v144, s64, -v67                            // 000000011350: D1CB0090 850C8190
	v_fma_f32 v145, v145, s64, -v67                            // 000000011358: D1CB0091 850C8191
	v_fma_f32 v146, v146, s64, -v67                            // 000000011360: D1CB0092 850C8192
	v_fma_f32 v147, v147, s64, -v67                            // 000000011368: D1CB0093 850C8193
	v_fma_f32 v148, v148, s64, -v67                            // 000000011370: D1CB0094 850C8194
	v_fma_f32 v149, v149, s64, -v67                            // 000000011378: D1CB0095 850C8195
	v_fma_f32 v150, v150, s64, -v67                            // 000000011380: D1CB0096 850C8196
	v_fma_f32 v151, v151, s64, -v67                            // 000000011388: D1CB0097 850C8197
	v_fma_f32 v152, v152, s64, -v67                            // 000000011390: D1CB0098 850C8198
	v_fma_f32 v153, v153, s64, -v67                            // 000000011398: D1CB0099 850C8199
	v_fma_f32 v154, v154, s64, -v67                            // 0000000113A0: D1CB009A 850C819A
	v_fma_f32 v155, v155, s64, -v67                            // 0000000113A8: D1CB009B 850C819B
	v_fma_f32 v156, v156, s64, -v67                            // 0000000113B0: D1CB009C 850C819C
	v_fma_f32 v157, v157, s64, -v67                            // 0000000113B8: D1CB009D 850C819D
	v_fma_f32 v158, v158, s64, -v67                            // 0000000113C0: D1CB009E 850C819E
	v_fma_f32 v159, v159, s64, -v67                            // 0000000113C8: D1CB009F 850C819F
	v_exp_f32_e32 v144, v144                                   // 0000000113D0: 7F204190
	v_exp_f32_e32 v145, v145                                   // 0000000113D4: 7F224191
	v_exp_f32_e32 v146, v146                                   // 0000000113D8: 7F244192
	v_exp_f32_e32 v147, v147                                   // 0000000113DC: 7F264193
	v_exp_f32_e32 v148, v148                                   // 0000000113E0: 7F284194
	v_exp_f32_e32 v149, v149                                   // 0000000113E4: 7F2A4195
	v_exp_f32_e32 v150, v150                                   // 0000000113E8: 7F2C4196
	v_exp_f32_e32 v151, v151                                   // 0000000113EC: 7F2E4197
	v_exp_f32_e32 v152, v152                                   // 0000000113F0: 7F304198
	v_exp_f32_e32 v153, v153                                   // 0000000113F4: 7F324199
	v_exp_f32_e32 v154, v154                                   // 0000000113F8: 7F34419A
	v_exp_f32_e32 v155, v155                                   // 0000000113FC: 7F36419B
	v_exp_f32_e32 v156, v156                                   // 000000011400: 7F38419C
	v_exp_f32_e32 v157, v157                                   // 000000011404: 7F3A419D
	v_exp_f32_e32 v158, v158                                   // 000000011408: 7F3C419E
	v_exp_f32_e32 v159, v159                                   // 00000001140C: 7F3E419F
	v_mul_f32_dpp v240, v252, v144 quad_perm:[0,0,0,0] row_mask:0xf bank_mask:0xf// 000000011410: 0BE120FA FF0000FC
	v_mul_f32_dpp v241, v252, v145 quad_perm:[1,1,1,1] row_mask:0xf bank_mask:0xf// 000000011418: 0BE322FA FF0055FC
	v_mul_f32_dpp v242, v252, v146 quad_perm:[2,2,2,2] row_mask:0xf bank_mask:0xf// 000000011420: 0BE524FA FF00AAFC
	v_mul_f32_dpp v243, v252, v147 quad_perm:[3,3,3,3] row_mask:0xf bank_mask:0xf// 000000011428: 0BE726FA FF00FFFC
	v_mul_f32_dpp v244, v253, v148 quad_perm:[0,0,0,0] row_mask:0xf bank_mask:0xf// 000000011430: 0BE928FA FF0000FD
	v_mul_f32_dpp v245, v253, v149 quad_perm:[1,1,1,1] row_mask:0xf bank_mask:0xf// 000000011438: 0BEB2AFA FF0055FD
	v_mul_f32_dpp v246, v253, v150 quad_perm:[2,2,2,2] row_mask:0xf bank_mask:0xf// 000000011440: 0BED2CFA FF00AAFD
	v_mul_f32_dpp v247, v253, v151 quad_perm:[3,3,3,3] row_mask:0xf bank_mask:0xf// 000000011448: 0BEF2EFA FF00FFFD
	v_mul_f32_dpp v248, v254, v152 quad_perm:[0,0,0,0] row_mask:0xf bank_mask:0xf// 000000011450: 0BF130FA FF0000FE
	v_mul_f32_dpp v249, v254, v153 quad_perm:[1,1,1,1] row_mask:0xf bank_mask:0xf// 000000011458: 0BF332FA FF0055FE
	v_mul_f32_dpp v250, v254, v154 quad_perm:[2,2,2,2] row_mask:0xf bank_mask:0xf// 000000011460: 0BF534FA FF00AAFE
	v_mul_f32_dpp v251, v254, v155 quad_perm:[3,3,3,3] row_mask:0xf bank_mask:0xf// 000000011468: 0BF736FA FF00FFFE
	v_mul_f32_dpp v252, v255, v156 quad_perm:[0,0,0,0] row_mask:0xf bank_mask:0xf// 000000011470: 0BF938FA FF0000FF
	v_mul_f32_dpp v253, v255, v157 quad_perm:[1,1,1,1] row_mask:0xf bank_mask:0xf// 000000011478: 0BFB3AFA FF0055FF
	v_mul_f32_dpp v254, v255, v158 quad_perm:[2,2,2,2] row_mask:0xf bank_mask:0xf// 000000011480: 0BFD3CFA FF00AAFF
	v_mul_f32_dpp v255, v255, v159 quad_perm:[3,3,3,3] row_mask:0xf bank_mask:0xf// 000000011488: 0BFF3EFA FF00FFFF
	v_mov_b32_e32 v62, 0x358637bd                              // 000000011490: 7E7C02FF 358637BD
	v_max3_f32 v62, |v240|, |v241|, v62                        // 000000011498: D1D3033E 04FBE3F0
	v_max3_f32 v62, |v242|, |v243|, v62                        // 0000000114A0: D1D3033E 04FBE7F2
	v_max3_f32 v62, |v244|, |v245|, v62                        // 0000000114A8: D1D3033E 04FBEBF4
	v_max3_f32 v62, |v246|, |v247|, v62                        // 0000000114B0: D1D3033E 04FBEFF6
	v_max3_f32 v62, |v248|, |v249|, v62                        // 0000000114B8: D1D3033E 04FBF3F8
	v_max3_f32 v62, |v250|, |v251|, v62                        // 0000000114C0: D1D3033E 04FBF7FA
	v_max3_f32 v62, |v252|, |v253|, v62                        // 0000000114C8: D1D3033E 04FBFBFC
	v_max3_f32 v62, |v254|, |v255|, v62                        // 0000000114D0: D1D3033E 04FBFFFE
	ds_write_b32 v11, v62 offset:20992                         // 0000000114D8: D81A5200 00003E0B
	v_sub_f32_e32 v64, v15, v18                                // 0000000114E0: 0480250F
	v_cndmask_b32_e64 v64, v64, 0, s[40:41]                    // 0000000114E4: D1000040 00A10140
	v_mov_b32_e32 v15, v18                                     // 0000000114EC: 7E1E0312
	v_mul_f32_e32 v64, s64, v64                                // 0000000114F0: 0A808040
	v_exp_f32_e32 v64, v64                                     // 0000000114F4: 7E804140
	s_waitcnt lgkmcnt(0)                                       // 0000000114F8: BF8CC07F
	s_barrier                                                  // 0000000114FC: BF8A0000
	ds_read_b32 v80, v10 offset:20992                          // 000000011500: D86C5200 5000000A
	ds_read_b32 v81, v10 offset:21056                          // 000000011508: D86C5240 5100000A
	ds_read_b32 v82, v10 offset:21120                          // 000000011510: D86C5280 5200000A
	ds_read_b32 v83, v10 offset:21184                          // 000000011518: D86C52C0 5300000A
	ds_read_b32 v84, v10 offset:21248                          // 000000011520: D86C5300 5400000A
	ds_read_b32 v85, v10 offset:21312                          // 000000011528: D86C5340 5500000A
	ds_read_b32 v86, v10 offset:21376                          // 000000011530: D86C5380 5600000A
	ds_read_b32 v87, v10 offset:21440                          // 000000011538: D86C53C0 5700000A
	ds_read_b32 v88, v10 offset:21504                          // 000000011540: D86C5400 5800000A
	ds_read_b32 v89, v10 offset:21568                          // 000000011548: D86C5440 5900000A
	ds_read_b32 v90, v10 offset:21632                          // 000000011550: D86C5480 5A00000A
	ds_read_b32 v91, v10 offset:21696                          // 000000011558: D86C54C0 5B00000A
	ds_read_b32 v92, v10 offset:21760                          // 000000011560: D86C5500 5C00000A
	ds_read_b32 v93, v10 offset:21824                          // 000000011568: D86C5540 5D00000A
	ds_read_b32 v94, v10 offset:21888                          // 000000011570: D86C5580 5E00000A
	ds_read_b32 v95, v10 offset:21952                          // 000000011578: D86C55C0 5F00000A
	v_mul_f32_e32 v48, v64, v48                                // 000000011580: 0A606140
	v_mov_b32_e32 v18, v144                                    // 000000011584: 7E240390
	v_add_f32_e32 v18, v145, v18                               // 000000011588: 02242591
	v_add_f32_e32 v18, v146, v18                               // 00000001158C: 02242592
	v_add_f32_e32 v18, v147, v18                               // 000000011590: 02242593
	v_add_f32_e32 v18, v148, v18                               // 000000011594: 02242594
	;; [unrolled: 1-line block ×3, first 2 shown]
	v_add_f32_e32 v18, v150, v18                               // 00000001159C: 02242596
	v_add_f32_e32 v18, v151, v18                               // 0000000115A0: 02242597
	v_add_f32_e32 v18, v152, v18                               // 0000000115A4: 02242598
	v_add_f32_e32 v18, v153, v18                               // 0000000115A8: 02242599
	v_add_f32_e32 v18, v154, v18                               // 0000000115AC: 0224259A
	v_add_f32_e32 v18, v155, v18                               // 0000000115B0: 0224259B
	v_add_f32_e32 v18, v156, v18                               // 0000000115B4: 0224259C
	v_add_f32_e32 v18, v157, v18                               // 0000000115B8: 0224259D
	v_add_f32_e32 v18, v158, v18                               // 0000000115BC: 0224259E
	v_add_f32_e32 v18, v159, v18                               // 0000000115C0: 0224259F
	v_add_f32_e32 v48, v18, v48                                // 0000000115C4: 02606112
	s_waitcnt lgkmcnt(0)                                       // 0000000115C8: BF8CC07F
	v_max3_f32 v62, |v80|, |v81|, v62                          // 0000000115CC: D1D3033E 04FAA350
	v_max3_f32 v62, |v82|, |v83|, v62                          // 0000000115D4: D1D3033E 04FAA752
	v_max3_f32 v62, |v84|, |v85|, v62                          // 0000000115DC: D1D3033E 04FAAB54
	v_max3_f32 v62, |v86|, |v87|, v62                          // 0000000115E4: D1D3033E 04FAAF56
	v_max3_f32 v62, |v88|, |v89|, v62                          // 0000000115EC: D1D3033E 04FAB358
	v_max3_f32 v62, |v90|, |v91|, v62                          // 0000000115F4: D1D3033E 04FAB75A
	v_max3_f32 v62, |v92|, |v93|, v62                          // 0000000115FC: D1D3033E 04FABB5C
	v_max3_f32 v62, |v94|, |v95|, v62                          // 000000011604: D1D3033E 04FABF5E
	s_nop 2                                                    // 00000001160C: BF800002
	v_rcp_f32_e32 v62, v62                                     // 000000011610: 7E7C453E
	s_nop 1                                                    // 000000011614: BF800001
	v_mul_f32_e32 v62, 0x43e00000, v62                         // 000000011618: 0A7C7CFF 43E00000
	v_mul_f32_e32 v144, v62, v240                              // 000000011620: 0B21E13E
	v_mul_f32_e32 v145, v62, v241                              // 000000011624: 0B23E33E
	v_mul_f32_e32 v146, v62, v242                              // 000000011628: 0B25E53E
	v_mul_f32_e32 v147, v62, v243                              // 00000001162C: 0B27E73E
	v_mul_f32_e32 v148, v62, v244                              // 000000011630: 0B29E93E
	v_mul_f32_e32 v149, v62, v245                              // 000000011634: 0B2BEB3E
	v_mul_f32_e32 v150, v62, v246                              // 000000011638: 0B2DED3E
	v_mul_f32_e32 v151, v62, v247                              // 00000001163C: 0B2FEF3E
	v_mul_f32_e32 v152, v62, v248                              // 000000011640: 0B31F13E
	v_mul_f32_e32 v153, v62, v249                              // 000000011644: 0B33F33E
	v_mul_f32_e32 v154, v62, v250                              // 000000011648: 0B35F53E
	v_mul_f32_e32 v155, v62, v251                              // 00000001164C: 0B37F73E
	v_mul_f32_e32 v156, v62, v252                              // 000000011650: 0B39F93E
	v_mul_f32_e32 v157, v62, v253                              // 000000011654: 0B3BFB3E
	v_mul_f32_e32 v158, v62, v254                              // 000000011658: 0B3DFD3E
	v_mul_f32_e32 v159, v62, v255                              // 00000001165C: 0B3FFF3E
	v_cvt_pk_fp8_f32 v144, v144, v145                          // 000000011660: D2A20090 00032390
	v_cvt_pk_fp8_f32 v144, v146, v147 op_sel:[0,0,1]           // 000000011668: D2A24090 00032792
	v_cvt_pk_fp8_f32 v145, v148, v149                          // 000000011670: D2A20091 00032B94
	v_cvt_pk_fp8_f32 v145, v150, v151 op_sel:[0,0,1]           // 000000011678: D2A24091 00032F96
	v_cvt_pk_fp8_f32 v146, v152, v153                          // 000000011680: D2A20092 00033398
	v_cvt_pk_fp8_f32 v146, v154, v155 op_sel:[0,0,1]           // 000000011688: D2A24092 0003379A
	v_cvt_pk_fp8_f32 v147, v156, v157                          // 000000011690: D2A20093 00033B9C
	v_cvt_pk_fp8_f32 v147, v158, v159 op_sel:[0,0,1]           // 000000011698: D2A24093 00033F9E
	ds_write_b32 v13, v144 offset:29184                        // 0000000116A0: D81A7200 0000900D
	ds_write_b32 v13, v145 offset:30208                        // 0000000116A8: D81A7600 0000910D
	ds_write_b32 v13, v146 offset:31232                        // 0000000116B0: D81A7A00 0000920D
	ds_write_b32 v13, v147 offset:32256                        // 0000000116B8: D81A7E00 0000930D
	v_add_f32_e32 v232, v232, v200                             // 0000000116C0: 03D191E8
	v_add_f32_e32 v233, v233, v201                             // 0000000116C4: 03D393E9
	v_add_f32_e32 v234, v234, v202                             // 0000000116C8: 03D595EA
	v_add_f32_e32 v235, v235, v203                             // 0000000116CC: 03D797EB
	v_add_f32_e32 v236, v236, v204                             // 0000000116D0: 03D999EC
	v_add_f32_e32 v237, v237, v205                             // 0000000116D4: 03DB9BED
	v_add_f32_e32 v238, v238, v206                             // 0000000116D8: 03DD9DEE
	v_add_f32_e32 v239, v239, v207                             // 0000000116DC: 03DF9FEF
	v_rcp_f32_e32 v59, v62                                     // 0000000116E0: 7E76453E
	s_waitcnt lgkmcnt(0)                                       // 0000000116E4: BF8CC07F
	s_barrier                                                  // 0000000116E8: BF8A0000
	ds_read_b64 v[144:145], v12 offset:29184                   // 0000000116EC: D8EC7200 9000000C
	ds_read_b64 v[146:147], v12 offset:29312                   // 0000000116F4: D8EC7280 9200000C
	ds_read_b64 v[148:149], v12 offset:30208                   // 0000000116FC: D8EC7600 9400000C
	ds_read_b64 v[150:151], v12 offset:30336                   // 000000011704: D8EC7680 9600000C
	ds_read_b64 v[152:153], v12 offset:31232                   // 00000001170C: D8EC7A00 9800000C
	ds_read_b64 v[154:155], v12 offset:31360                   // 000000011714: D8EC7A80 9A00000C
	ds_read_b64 v[156:157], v12 offset:32256                   // 00000001171C: D8EC7E00 9C00000C
	ds_read_b64 v[158:159], v12 offset:32384                   // 000000011724: D8EC7E80 9E00000C
	s_waitcnt vmcnt(0)                                         // 00000001172C: BF8C0F70
	s_barrier                                                  // 000000011730: BF8A0000
	v_mfma_f32_16x16x32_fp8_fp8 v[192:195], a[64:65], v[128:129], 0// 000000011734: D3F300C0 0A030140
	v_mfma_f32_16x16x32_fp8_fp8 v[192:195], a[66:67], v[130:131], v[192:195]// 00000001173C: D3F300C0 0F030542
	v_mfma_f32_16x16x32_fp8_fp8 v[192:195], a[68:69], v[132:133], v[192:195]// 000000011744: D3F300C0 0F030944
	v_mfma_f32_16x16x32_fp8_fp8 v[192:195], a[70:71], v[134:135], v[192:195]// 00000001174C: D3F300C0 0F030D46
	v_mfma_f32_16x16x32_fp8_fp8 v[192:195], a[72:73], v[136:137], v[192:195]// 000000011754: D3F300C0 0F031148
	v_mfma_f32_16x16x32_fp8_fp8 v[192:195], a[74:75], v[138:139], v[192:195]// 00000001175C: D3F300C0 0F03154A
	v_mfma_f32_16x16x32_fp8_fp8 v[192:195], a[76:77], v[140:141], v[192:195]// 000000011764: D3F300C0 0F03194C
	v_mfma_f32_16x16x32_fp8_fp8 v[192:195], a[78:79], v[142:143], v[192:195]// 00000001176C: D3F300C0 0F031D4E
	v_mfma_f32_16x16x32_fp8_fp8 v[196:199], a[80:81], v[128:129], 0// 000000011774: D3F300C4 0A030150
	v_mfma_f32_16x16x32_fp8_fp8 v[196:199], a[82:83], v[130:131], v[196:199]// 00000001177C: D3F300C4 0F130552
	v_mfma_f32_16x16x32_fp8_fp8 v[196:199], a[84:85], v[132:133], v[196:199]// 000000011784: D3F300C4 0F130954
	v_mfma_f32_16x16x32_fp8_fp8 v[196:199], a[86:87], v[134:135], v[196:199]// 00000001178C: D3F300C4 0F130D56
	v_mfma_f32_16x16x32_fp8_fp8 v[196:199], a[88:89], v[136:137], v[196:199]// 000000011794: D3F300C4 0F131158
	v_mfma_f32_16x16x32_fp8_fp8 v[196:199], a[90:91], v[138:139], v[196:199]// 00000001179C: D3F300C4 0F13155A
	v_mfma_f32_16x16x32_fp8_fp8 v[196:199], a[92:93], v[140:141], v[196:199]// 0000000117A4: D3F300C4 0F13195C
	v_mfma_f32_16x16x32_fp8_fp8 v[196:199], a[94:95], v[142:143], v[196:199]// 0000000117AC: D3F300C4 0F131D5E
	v_mfma_f32_16x16x32_fp8_fp8 v[200:203], a[64:65], v[144:145], 0// 0000000117B4: D3F300C8 0A032140
	v_mfma_f32_16x16x32_fp8_fp8 v[200:203], a[66:67], v[146:147], v[200:203]// 0000000117BC: D3F300C8 0F232542
	v_mfma_f32_16x16x32_fp8_fp8 v[200:203], a[68:69], v[148:149], v[200:203]// 0000000117C4: D3F300C8 0F232944
	v_mfma_f32_16x16x32_fp8_fp8 v[200:203], a[70:71], v[150:151], v[200:203]// 0000000117CC: D3F300C8 0F232D46
	v_mfma_f32_16x16x32_fp8_fp8 v[200:203], a[72:73], v[152:153], v[200:203]// 0000000117D4: D3F300C8 0F233148
	v_mfma_f32_16x16x32_fp8_fp8 v[200:203], a[74:75], v[154:155], v[200:203]// 0000000117DC: D3F300C8 0F23354A
	v_mfma_f32_16x16x32_fp8_fp8 v[200:203], a[76:77], v[156:157], v[200:203]// 0000000117E4: D3F300C8 0F23394C
	v_mfma_f32_16x16x32_fp8_fp8 v[200:203], a[78:79], v[158:159], v[200:203]// 0000000117EC: D3F300C8 0F233D4E
	v_mfma_f32_16x16x32_fp8_fp8 v[204:207], a[80:81], v[144:145], 0// 0000000117F4: D3F300CC 0A032150
	v_mfma_f32_16x16x32_fp8_fp8 v[204:207], a[82:83], v[146:147], v[204:207]// 0000000117FC: D3F300CC 0F332552
	v_mfma_f32_16x16x32_fp8_fp8 v[204:207], a[84:85], v[148:149], v[204:207]// 000000011804: D3F300CC 0F332954
	v_mfma_f32_16x16x32_fp8_fp8 v[204:207], a[86:87], v[150:151], v[204:207]// 00000001180C: D3F300CC 0F332D56
	v_mfma_f32_16x16x32_fp8_fp8 v[204:207], a[88:89], v[152:153], v[204:207]// 000000011814: D3F300CC 0F333158
	v_mfma_f32_16x16x32_fp8_fp8 v[204:207], a[90:91], v[154:155], v[204:207]// 00000001181C: D3F300CC 0F33355A
	v_mfma_f32_16x16x32_fp8_fp8 v[204:207], a[92:93], v[156:157], v[204:207]// 000000011824: D3F300CC 0F33395C
	v_mfma_f32_16x16x32_fp8_fp8 v[204:207], a[94:95], v[158:159], v[204:207]// 00000001182C: D3F300CC 0F333D5E
	s_nop 4                                                    // 000000011834: BF800004
	s_branch label_4354                                        // 000000011838: BF8205C5

000000000001183c <label_3D8F>:
	s_waitcnt vmcnt(8) lgkmcnt(0)                              // 00000001183C: BF8C0078
	s_barrier                                                  // 000000011840: BF8A0000
	v_mfma_f32_16x16x32_fp8_fp8 v[128:131], a[32:33], v[96:97], 0// 000000011844: D3F30080 0A02C120
	v_mfma_f32_16x16x32_fp8_fp8 v[128:131], a[34:35], v[98:99], v[128:131]// 00000001184C: D3F30080 0E02C522
	v_mfma_f32_16x16x32_fp8_fp8 v[128:131], a[36:37], v[100:101], v[128:131]// 000000011854: D3F30080 0E02C924
	v_mfma_f32_16x16x32_fp8_fp8 v[128:131], a[38:39], v[102:103], v[128:131]// 00000001185C: D3F30080 0E02CD26
	v_mfma_f32_16x16x32_fp8_fp8 v[132:135], a[40:41], v[96:97], 0// 000000011864: D3F30084 0A02C128
	v_mfma_f32_16x16x32_fp8_fp8 v[132:135], a[42:43], v[98:99], v[132:135]// 00000001186C: D3F30084 0E12C52A
	v_mfma_f32_16x16x32_fp8_fp8 v[132:135], a[44:45], v[100:101], v[132:135]// 000000011874: D3F30084 0E12C92C
	v_mfma_f32_16x16x32_fp8_fp8 v[132:135], a[46:47], v[102:103], v[132:135]// 00000001187C: D3F30084 0E12CD2E
	v_mfma_f32_16x16x32_fp8_fp8 v[136:139], a[48:49], v[96:97], 0// 000000011884: D3F30088 0A02C130
	v_mfma_f32_16x16x32_fp8_fp8 v[136:139], a[50:51], v[98:99], v[136:139]// 00000001188C: D3F30088 0E22C532
	v_mfma_f32_16x16x32_fp8_fp8 v[136:139], a[52:53], v[100:101], v[136:139]// 000000011894: D3F30088 0E22C934
	v_mfma_f32_16x16x32_fp8_fp8 v[136:139], a[54:55], v[102:103], v[136:139]// 00000001189C: D3F30088 0E22CD36
	v_mfma_f32_16x16x32_fp8_fp8 v[140:143], a[56:57], v[96:97], 0// 0000000118A4: D3F3008C 0A02C138
	v_mfma_f32_16x16x32_fp8_fp8 v[140:143], a[58:59], v[98:99], v[140:143]// 0000000118AC: D3F3008C 0E32C53A
	v_mfma_f32_16x16x32_fp8_fp8 v[140:143], a[60:61], v[100:101], v[140:143]// 0000000118B4: D3F3008C 0E32C93C
	v_mfma_f32_16x16x32_fp8_fp8 v[140:143], a[62:63], v[102:103], v[140:143]// 0000000118BC: D3F3008C 0E32CD3E
	v_mfma_f32_16x16x32_fp8_fp8 v[144:147], a[32:33], v[104:105], 0// 0000000118C4: D3F30090 0A02D120
	v_mfma_f32_16x16x32_fp8_fp8 v[144:147], a[34:35], v[106:107], v[144:147]// 0000000118CC: D3F30090 0E42D522
	v_mfma_f32_16x16x32_fp8_fp8 v[144:147], a[36:37], v[108:109], v[144:147]// 0000000118D4: D3F30090 0E42D924
	v_mfma_f32_16x16x32_fp8_fp8 v[144:147], a[38:39], v[110:111], v[144:147]// 0000000118DC: D3F30090 0E42DD26
	v_mfma_f32_16x16x32_fp8_fp8 v[148:151], a[40:41], v[104:105], 0// 0000000118E4: D3F30094 0A02D128
	v_mfma_f32_16x16x32_fp8_fp8 v[148:151], a[42:43], v[106:107], v[148:151]// 0000000118EC: D3F30094 0E52D52A
	v_mfma_f32_16x16x32_fp8_fp8 v[148:151], a[44:45], v[108:109], v[148:151]// 0000000118F4: D3F30094 0E52D92C
	v_mfma_f32_16x16x32_fp8_fp8 v[148:151], a[46:47], v[110:111], v[148:151]// 0000000118FC: D3F30094 0E52DD2E
	v_mfma_f32_16x16x32_fp8_fp8 v[152:155], a[48:49], v[104:105], 0// 000000011904: D3F30098 0A02D130
	v_mfma_f32_16x16x32_fp8_fp8 v[152:155], a[50:51], v[106:107], v[152:155]// 00000001190C: D3F30098 0E62D532
	v_mfma_f32_16x16x32_fp8_fp8 v[152:155], a[52:53], v[108:109], v[152:155]// 000000011914: D3F30098 0E62D934
	v_mfma_f32_16x16x32_fp8_fp8 v[152:155], a[54:55], v[110:111], v[152:155]// 00000001191C: D3F30098 0E62DD36
	v_mfma_f32_16x16x32_fp8_fp8 v[156:159], a[56:57], v[104:105], 0// 000000011924: D3F3009C 0A02D138
	v_mfma_f32_16x16x32_fp8_fp8 v[156:159], a[58:59], v[106:107], v[156:159]// 00000001192C: D3F3009C 0E72D53A
	v_mfma_f32_16x16x32_fp8_fp8 v[156:159], a[60:61], v[108:109], v[156:159]// 000000011934: D3F3009C 0E72D93C
	v_mfma_f32_16x16x32_fp8_fp8 v[156:159], a[62:63], v[110:111], v[156:159]// 00000001193C: D3F3009C 0E72DD3E
	v_mov_b32_dpp v41, v53 row_shr:4 row_mask:0xf bank_mask:0xf// 000000011944: 7E5202FA FF011435
	v_mov_b32_dpp v42, v53 row_shl:4 row_mask:0xf bank_mask:0xf// 00000001194C: 7E5402FA FF010435
	v_cndmask_b32_e64 v248, v53, v41, s[44:45]                 // 000000011954: D10000F8 00B25335
	v_cndmask_b32_e64 v249, v42, v53, s[44:45]                 // 00000001195C: D10000F9 00B26B2A
	v_mov_b32_dpp v41, v248 row_shr:8 row_mask:0xf bank_mask:0xf// 000000011964: 7E5202FA FF0118F8
	v_mov_b32_dpp v42, v248 row_shl:8 row_mask:0xf bank_mask:0xf// 00000001196C: 7E5402FA FF0108F8
	v_mov_b32_dpp v43, v249 row_shr:8 row_mask:0xf bank_mask:0xf// 000000011974: 7E5602FA FF0118F9
	v_mov_b32_dpp v44, v249 row_shl:8 row_mask:0xf bank_mask:0xf// 00000001197C: 7E5802FA FF0108F9
	v_mov_b32_e32 v45, v248                                    // 000000011984: 7E5A03F8
	v_mov_b32_e32 v46, v249                                    // 000000011988: 7E5C03F9
	v_cndmask_b32_e64 v248, v45, v41, s[42:43]                 // 00000001198C: D10000F8 00AA532D
	v_cndmask_b32_e64 v250, v45, v42, s[78:79]                 // 000000011994: D10000FA 013A552D
	v_cndmask_b32_e64 v249, v46, v43, s[42:43]                 // 00000001199C: D10000F9 00AA572E
	v_cndmask_b32_e64 v251, v46, v44, s[78:79]                 // 0000000119A4: D10000FB 013A592E
	v_mov_b32_dpp v41, v73 row_shr:4 row_mask:0xf bank_mask:0xf// 0000000119AC: 7E5202FA FF011449
	v_mov_b32_dpp v42, v73 row_shl:4 row_mask:0xf bank_mask:0xf// 0000000119B4: 7E5402FA FF010449
	v_cndmask_b32_e64 v252, v73, v41, s[44:45]                 // 0000000119BC: D10000FC 00B25349
	v_cndmask_b32_e64 v253, v42, v73, s[44:45]                 // 0000000119C4: D10000FD 00B2932A
	v_mov_b32_dpp v41, v252 row_shr:8 row_mask:0xf bank_mask:0xf// 0000000119CC: 7E5202FA FF0118FC
	v_mov_b32_dpp v42, v252 row_shl:8 row_mask:0xf bank_mask:0xf// 0000000119D4: 7E5402FA FF0108FC
	v_mov_b32_dpp v43, v253 row_shr:8 row_mask:0xf bank_mask:0xf// 0000000119DC: 7E5602FA FF0118FD
	v_mov_b32_dpp v44, v253 row_shl:8 row_mask:0xf bank_mask:0xf// 0000000119E4: 7E5802FA FF0108FD
	v_mov_b32_e32 v45, v252                                    // 0000000119EC: 7E5A03FC
	v_mov_b32_e32 v46, v253                                    // 0000000119F0: 7E5C03FD
	v_cndmask_b32_e64 v252, v45, v41, s[42:43]                 // 0000000119F4: D10000FC 00AA532D
	v_cndmask_b32_e64 v254, v45, v42, s[78:79]                 // 0000000119FC: D10000FE 013A552D
	v_cndmask_b32_e64 v253, v46, v43, s[42:43]                 // 000000011A04: D10000FD 00AA572E
	v_cndmask_b32_e64 v255, v46, v44, s[78:79]                 // 000000011A0C: D10000FF 013A592E
	v_mul_f32_e32 v128, v54, v128                              // 000000011A14: 0B010136
	v_mul_f32_e32 v129, v54, v129                              // 000000011A18: 0B030336
	v_mul_f32_e32 v130, v54, v130                              // 000000011A1C: 0B050536
	v_mul_f32_e32 v131, v54, v131                              // 000000011A20: 0B070736
	v_mul_f32_e32 v132, v54, v132                              // 000000011A24: 0B090936
	v_mul_f32_e32 v133, v54, v133                              // 000000011A28: 0B0B0B36
	v_mul_f32_e32 v134, v54, v134                              // 000000011A2C: 0B0D0D36
	v_mul_f32_e32 v135, v54, v135                              // 000000011A30: 0B0F0F36
	v_mul_f32_e32 v136, v54, v136                              // 000000011A34: 0B111136
	v_mul_f32_e32 v137, v54, v137                              // 000000011A38: 0B131336
	v_mul_f32_e32 v138, v54, v138                              // 000000011A3C: 0B151536
	v_mul_f32_e32 v139, v54, v139                              // 000000011A40: 0B171736
	v_mul_f32_e32 v140, v54, v140                              // 000000011A44: 0B191936
	v_mul_f32_e32 v141, v54, v141                              // 000000011A48: 0B1B1B36
	v_mul_f32_e32 v142, v54, v142                              // 000000011A4C: 0B1D1D36
	v_mul_f32_e32 v143, v54, v143                              // 000000011A50: 0B1F1F36
	v_mul_f32_dpp v128, v248, v128 quad_perm:[0,0,0,0] row_mask:0xf bank_mask:0xf// 000000011A54: 0B0100FA FF0000F8
	v_mul_f32_dpp v129, v248, v129 quad_perm:[1,1,1,1] row_mask:0xf bank_mask:0xf// 000000011A5C: 0B0302FA FF0055F8
	v_mul_f32_dpp v130, v248, v130 quad_perm:[2,2,2,2] row_mask:0xf bank_mask:0xf// 000000011A64: 0B0504FA FF00AAF8
	v_mul_f32_dpp v131, v248, v131 quad_perm:[3,3,3,3] row_mask:0xf bank_mask:0xf// 000000011A6C: 0B0706FA FF00FFF8
	v_mul_f32_dpp v132, v249, v132 quad_perm:[0,0,0,0] row_mask:0xf bank_mask:0xf// 000000011A74: 0B0908FA FF0000F9
	v_mul_f32_dpp v133, v249, v133 quad_perm:[1,1,1,1] row_mask:0xf bank_mask:0xf// 000000011A7C: 0B0B0AFA FF0055F9
	v_mul_f32_dpp v134, v249, v134 quad_perm:[2,2,2,2] row_mask:0xf bank_mask:0xf// 000000011A84: 0B0D0CFA FF00AAF9
	v_mul_f32_dpp v135, v249, v135 quad_perm:[3,3,3,3] row_mask:0xf bank_mask:0xf// 000000011A8C: 0B0F0EFA FF00FFF9
	v_mul_f32_dpp v136, v250, v136 quad_perm:[0,0,0,0] row_mask:0xf bank_mask:0xf// 000000011A94: 0B1110FA FF0000FA
	v_mul_f32_dpp v137, v250, v137 quad_perm:[1,1,1,1] row_mask:0xf bank_mask:0xf// 000000011A9C: 0B1312FA FF0055FA
	v_mul_f32_dpp v138, v250, v138 quad_perm:[2,2,2,2] row_mask:0xf bank_mask:0xf// 000000011AA4: 0B1514FA FF00AAFA
	v_mul_f32_dpp v139, v250, v139 quad_perm:[3,3,3,3] row_mask:0xf bank_mask:0xf// 000000011AAC: 0B1716FA FF00FFFA
	v_mul_f32_dpp v140, v251, v140 quad_perm:[0,0,0,0] row_mask:0xf bank_mask:0xf// 000000011AB4: 0B1918FA FF0000FB
	v_mul_f32_dpp v141, v251, v141 quad_perm:[1,1,1,1] row_mask:0xf bank_mask:0xf// 000000011ABC: 0B1B1AFA FF0055FB
	v_mul_f32_dpp v142, v251, v142 quad_perm:[2,2,2,2] row_mask:0xf bank_mask:0xf// 000000011AC4: 0B1D1CFA FF00AAFB
	v_mul_f32_dpp v143, v251, v143 quad_perm:[3,3,3,3] row_mask:0xf bank_mask:0xf// 000000011ACC: 0B1F1EFA FF00FFFB
	s_cmp_le_i32 s90, s89                                      // 000000011AD4: BF05595A
	s_cbranch_scc1 label_3EAA                                  // 000000011AD8: BF850073
	v_mov_b32_e32 v69, 0xff800000                              // 000000011ADC: 7E8A02FF FF800000
	s_mov_b32 s60, s90                                         // 000000011AE4: BEBC005A
	s_add_u32 s61, s89, 0xff                                   // 000000011AE8: 803DFF59 000000FF
	v_mov_b32_e32 v41, s61                                     // 000000011AF0: 7E52023D
	v_lshrrev_b32_e32 v240, 4, v0                              // 000000011AF4: 21E00084
	v_mul_i32_i24_e32 v240, 4, v240                            // 000000011AF8: 0DE1E084
	v_add_u32_e32 v240, s60, v240                              // 000000011AFC: 69E1E03C
	v_and_b32_e32 v42, 15, v0                                  // 000000011B00: 2654008F
	v_lshrrev_b32_e32 v42, 3, v42                              // 000000011B04: 20545483
	s_mov_b32 s61, 0                                           // 000000011B08: BEBD0080
	s_mul_i32 s60, 16, s7                                      // 000000011B0C: 923C0790
	v_add_u32_e32 v42, s61, v42                                // 000000011B10: 6854543D
	v_sub_u32_e32 v240, v240, v42                              // 000000011B14: 6BE055F0
	v_add_u32_e32 v240, s60, v240                              // 000000011B18: 69E1E03C
	v_add_u32_e32 v241, 1, v240                                // 000000011B1C: 69E3E081
	v_add_u32_e32 v242, 2, v240                                // 000000011B20: 69E5E082
	v_add_u32_e32 v243, 3, v240                                // 000000011B24: 69E7E083
	v_cmp_le_u32_e64 s[40:41], v240, v41                       // 000000011B28: D0CB0028 000253F0
	v_add_u32_e32 v240, 64, v240                               // 000000011B30: 69E1E0C0
	s_nop 0                                                    // 000000011B34: BF800000
	v_cndmask_b32_e64 v128, v69, v128, s[40:41]                // 000000011B38: D1000080 00A30145
	v_cmp_le_u32_e64 s[40:41], v241, v41                       // 000000011B40: D0CB0028 000253F1
	v_add_u32_e32 v241, 64, v241                               // 000000011B48: 69E3E2C0
	s_nop 0                                                    // 000000011B4C: BF800000
	v_cndmask_b32_e64 v129, v69, v129, s[40:41]                // 000000011B50: D1000081 00A30345
	v_cmp_le_u32_e64 s[40:41], v242, v41                       // 000000011B58: D0CB0028 000253F2
	v_add_u32_e32 v242, 64, v242                               // 000000011B60: 69E5E4C0
	s_nop 0                                                    // 000000011B64: BF800000
	v_cndmask_b32_e64 v130, v69, v130, s[40:41]                // 000000011B68: D1000082 00A30545
	v_cmp_le_u32_e64 s[40:41], v243, v41                       // 000000011B70: D0CB0028 000253F3
	v_add_u32_e32 v243, 64, v243                               // 000000011B78: 69E7E6C0
	s_nop 0                                                    // 000000011B7C: BF800000
	v_cndmask_b32_e64 v131, v69, v131, s[40:41]                // 000000011B80: D1000083 00A30745
	v_cmp_le_u32_e64 s[40:41], v240, v41                       // 000000011B88: D0CB0028 000253F0
	v_add_u32_e32 v240, 64, v240                               // 000000011B90: 69E1E0C0
	s_nop 0                                                    // 000000011B94: BF800000
	v_cndmask_b32_e64 v132, v69, v132, s[40:41]                // 000000011B98: D1000084 00A30945
	v_cmp_le_u32_e64 s[40:41], v241, v41                       // 000000011BA0: D0CB0028 000253F1
	v_add_u32_e32 v241, 64, v241                               // 000000011BA8: 69E3E2C0
	s_nop 0                                                    // 000000011BAC: BF800000
	v_cndmask_b32_e64 v133, v69, v133, s[40:41]                // 000000011BB0: D1000085 00A30B45
	v_cmp_le_u32_e64 s[40:41], v242, v41                       // 000000011BB8: D0CB0028 000253F2
	v_add_u32_e32 v242, 64, v242                               // 000000011BC0: 69E5E4C0
	s_nop 0                                                    // 000000011BC4: BF800000
	v_cndmask_b32_e64 v134, v69, v134, s[40:41]                // 000000011BC8: D1000086 00A30D45
	v_cmp_le_u32_e64 s[40:41], v243, v41                       // 000000011BD0: D0CB0028 000253F3
	v_add_u32_e32 v243, 64, v243                               // 000000011BD8: 69E7E6C0
	s_nop 0                                                    // 000000011BDC: BF800000
	v_cndmask_b32_e64 v135, v69, v135, s[40:41]                // 000000011BE0: D1000087 00A30F45
	v_cmp_le_u32_e64 s[40:41], v240, v41                       // 000000011BE8: D0CB0028 000253F0
	v_add_u32_e32 v240, 64, v240                               // 000000011BF0: 69E1E0C0
	s_nop 0                                                    // 000000011BF4: BF800000
	v_cndmask_b32_e64 v136, v69, v136, s[40:41]                // 000000011BF8: D1000088 00A31145
	v_cmp_le_u32_e64 s[40:41], v241, v41                       // 000000011C00: D0CB0028 000253F1
	v_add_u32_e32 v241, 64, v241                               // 000000011C08: 69E3E2C0
	s_nop 0                                                    // 000000011C0C: BF800000
	v_cndmask_b32_e64 v137, v69, v137, s[40:41]                // 000000011C10: D1000089 00A31345
	v_cmp_le_u32_e64 s[40:41], v242, v41                       // 000000011C18: D0CB0028 000253F2
	v_add_u32_e32 v242, 64, v242                               // 000000011C20: 69E5E4C0
	s_nop 0                                                    // 000000011C24: BF800000
	v_cndmask_b32_e64 v138, v69, v138, s[40:41]                // 000000011C28: D100008A 00A31545
	v_cmp_le_u32_e64 s[40:41], v243, v41                       // 000000011C30: D0CB0028 000253F3
	v_add_u32_e32 v243, 64, v243                               // 000000011C38: 69E7E6C0
	s_nop 0                                                    // 000000011C3C: BF800000
	v_cndmask_b32_e64 v139, v69, v139, s[40:41]                // 000000011C40: D100008B 00A31745
	v_cmp_le_u32_e64 s[40:41], v240, v41                       // 000000011C48: D0CB0028 000253F0
	v_add_u32_e32 v240, 64, v240                               // 000000011C50: 69E1E0C0
	s_nop 0                                                    // 000000011C54: BF800000
	v_cndmask_b32_e64 v140, v69, v140, s[40:41]                // 000000011C58: D100008C 00A31945
	v_cmp_le_u32_e64 s[40:41], v241, v41                       // 000000011C60: D0CB0028 000253F1
	v_add_u32_e32 v241, 64, v241                               // 000000011C68: 69E3E2C0
	s_nop 0                                                    // 000000011C6C: BF800000
	v_cndmask_b32_e64 v141, v69, v141, s[40:41]                // 000000011C70: D100008D 00A31B45
	v_cmp_le_u32_e64 s[40:41], v242, v41                       // 000000011C78: D0CB0028 000253F2
	v_add_u32_e32 v242, 64, v242                               // 000000011C80: 69E5E4C0
	s_nop 0                                                    // 000000011C84: BF800000
	v_cndmask_b32_e64 v142, v69, v142, s[40:41]                // 000000011C88: D100008E 00A31D45
	v_cmp_le_u32_e64 s[40:41], v243, v41                       // 000000011C90: D0CB0028 000253F3
	v_add_u32_e32 v243, 64, v243                               // 000000011C98: 69E7E6C0
	s_nop 0                                                    // 000000011C9C: BF800000
	v_cndmask_b32_e64 v143, v69, v143, s[40:41]                // 000000011CA0: D100008F 00A31F45

0000000000011ca8 <label_3EAA>:
	s_and_b32 s60, s72, 0xff                                   // 000000011CA8: 863CFF48 000000FF
	v_mov_b32_e32 v42, s60                                     // 000000011CB0: 7E54023C
	v_lshrrev_b32_e32 v240, 4, v0                              // 000000011CB4: 21E00084
	v_mul_i32_i24_e32 v240, 4, v240                            // 000000011CB8: 0DE1E084
	s_mul_i32 s60, s7, 16                                      // 000000011CBC: 923C9007
	v_add_u32_e32 v240, s60, v240                              // 000000011CC0: 69E1E03C
	v_add_u32_e32 v241, 1, v240                                // 000000011CC4: 69E3E081
	v_add_u32_e32 v242, 2, v240                                // 000000011CC8: 69E5E082
	v_add_u32_e32 v243, 3, v240                                // 000000011CCC: 69E7E083
	v_mov_b32_e32 v41, 0xff800000                              // 000000011CD0: 7E5202FF FF800000
	v_cmp_lt_u32_e64 s[40:41], v240, v42                       // 000000011CD8: D0C90028 000255F0
	v_add_u32_e32 v240, 64, v240                               // 000000011CE0: 69E1E0C0
	s_nop 0                                                    // 000000011CE4: BF800000
	v_cndmask_b32_e64 v128, v41, v128, s[40:41]                // 000000011CE8: D1000080 00A30129
	v_cmp_lt_u32_e64 s[40:41], v241, v42                       // 000000011CF0: D0C90028 000255F1
	v_add_u32_e32 v241, 64, v241                               // 000000011CF8: 69E3E2C0
	s_nop 0                                                    // 000000011CFC: BF800000
	v_cndmask_b32_e64 v129, v41, v129, s[40:41]                // 000000011D00: D1000081 00A30329
	v_cmp_lt_u32_e64 s[40:41], v242, v42                       // 000000011D08: D0C90028 000255F2
	v_add_u32_e32 v242, 64, v242                               // 000000011D10: 69E5E4C0
	s_nop 0                                                    // 000000011D14: BF800000
	v_cndmask_b32_e64 v130, v41, v130, s[40:41]                // 000000011D18: D1000082 00A30529
	v_cmp_lt_u32_e64 s[40:41], v243, v42                       // 000000011D20: D0C90028 000255F3
	v_add_u32_e32 v243, 64, v243                               // 000000011D28: 69E7E6C0
	s_nop 0                                                    // 000000011D2C: BF800000
	v_cndmask_b32_e64 v131, v41, v131, s[40:41]                // 000000011D30: D1000083 00A30729
	v_cmp_lt_u32_e64 s[40:41], v240, v42                       // 000000011D38: D0C90028 000255F0
	v_add_u32_e32 v240, 64, v240                               // 000000011D40: 69E1E0C0
	s_nop 0                                                    // 000000011D44: BF800000
	v_cndmask_b32_e64 v132, v41, v132, s[40:41]                // 000000011D48: D1000084 00A30929
	v_cmp_lt_u32_e64 s[40:41], v241, v42                       // 000000011D50: D0C90028 000255F1
	v_add_u32_e32 v241, 64, v241                               // 000000011D58: 69E3E2C0
	s_nop 0                                                    // 000000011D5C: BF800000
	v_cndmask_b32_e64 v133, v41, v133, s[40:41]                // 000000011D60: D1000085 00A30B29
	v_cmp_lt_u32_e64 s[40:41], v242, v42                       // 000000011D68: D0C90028 000255F2
	v_add_u32_e32 v242, 64, v242                               // 000000011D70: 69E5E4C0
	s_nop 0                                                    // 000000011D74: BF800000
	v_cndmask_b32_e64 v134, v41, v134, s[40:41]                // 000000011D78: D1000086 00A30D29
	v_cmp_lt_u32_e64 s[40:41], v243, v42                       // 000000011D80: D0C90028 000255F3
	v_add_u32_e32 v243, 64, v243                               // 000000011D88: 69E7E6C0
	s_nop 0                                                    // 000000011D8C: BF800000
	v_cndmask_b32_e64 v135, v41, v135, s[40:41]                // 000000011D90: D1000087 00A30F29
	v_cmp_lt_u32_e64 s[40:41], v240, v42                       // 000000011D98: D0C90028 000255F0
	v_add_u32_e32 v240, 64, v240                               // 000000011DA0: 69E1E0C0
	s_nop 0                                                    // 000000011DA4: BF800000
	v_cndmask_b32_e64 v136, v41, v136, s[40:41]                // 000000011DA8: D1000088 00A31129
	v_cmp_lt_u32_e64 s[40:41], v241, v42                       // 000000011DB0: D0C90028 000255F1
	v_add_u32_e32 v241, 64, v241                               // 000000011DB8: 69E3E2C0
	s_nop 0                                                    // 000000011DBC: BF800000
	v_cndmask_b32_e64 v137, v41, v137, s[40:41]                // 000000011DC0: D1000089 00A31329
	v_cmp_lt_u32_e64 s[40:41], v242, v42                       // 000000011DC8: D0C90028 000255F2
	v_add_u32_e32 v242, 64, v242                               // 000000011DD0: 69E5E4C0
	s_nop 0                                                    // 000000011DD4: BF800000
	v_cndmask_b32_e64 v138, v41, v138, s[40:41]                // 000000011DD8: D100008A 00A31529
	v_cmp_lt_u32_e64 s[40:41], v243, v42                       // 000000011DE0: D0C90028 000255F3
	v_add_u32_e32 v243, 64, v243                               // 000000011DE8: 69E7E6C0
	s_nop 0                                                    // 000000011DEC: BF800000
	v_cndmask_b32_e64 v139, v41, v139, s[40:41]                // 000000011DF0: D100008B 00A31729
	v_cmp_lt_u32_e64 s[40:41], v240, v42                       // 000000011DF8: D0C90028 000255F0
	v_add_u32_e32 v240, 64, v240                               // 000000011E00: 69E1E0C0
	s_nop 0                                                    // 000000011E04: BF800000
	v_cndmask_b32_e64 v140, v41, v140, s[40:41]                // 000000011E08: D100008C 00A31929
	v_cmp_lt_u32_e64 s[40:41], v241, v42                       // 000000011E10: D0C90028 000255F1
	v_add_u32_e32 v241, 64, v241                               // 000000011E18: 69E3E2C0
	s_nop 0                                                    // 000000011E1C: BF800000
	v_cndmask_b32_e64 v141, v41, v141, s[40:41]                // 000000011E20: D100008D 00A31B29
	v_cmp_lt_u32_e64 s[40:41], v242, v42                       // 000000011E28: D0C90028 000255F2
	v_add_u32_e32 v242, 64, v242                               // 000000011E30: 69E5E4C0
	s_nop 0                                                    // 000000011E34: BF800000
	v_cndmask_b32_e64 v142, v41, v142, s[40:41]                // 000000011E38: D100008E 00A31D29
	v_cmp_lt_u32_e64 s[40:41], v243, v42                       // 000000011E40: D0C90028 000255F3
	v_add_u32_e32 v243, 64, v243                               // 000000011E48: 69E7E6C0
	s_nop 0                                                    // 000000011E4C: BF800000
	v_cndmask_b32_e64 v143, v41, v143, s[40:41]                // 000000011E50: D100008F 00A31F29
	v_mov_b32_e32 v62, v128                                    // 000000011E58: 7E7C0380
	v_max3_f32 v62, v128, v129, v62                            // 000000011E5C: D1D3003E 04FB0380
	v_max3_f32 v62, v130, v131, v62                            // 000000011E64: D1D3003E 04FB0782
	v_max3_f32 v62, v132, v133, v62                            // 000000011E6C: D1D3003E 04FB0B84
	v_max3_f32 v62, v134, v135, v62                            // 000000011E74: D1D3003E 04FB0F86
	v_max3_f32 v62, v136, v137, v62                            // 000000011E7C: D1D3003E 04FB1388
	v_max3_f32 v62, v138, v139, v62                            // 000000011E84: D1D3003E 04FB178A
	v_max3_f32 v62, v140, v141, v62                            // 000000011E8C: D1D3003E 04FB1B8C
	v_max3_f32 v62, v142, v143, v62                            // 000000011E94: D1D3003E 04FB1F8E
	ds_write_b32 v11, v62 offset:16896                         // 000000011E9C: D81A4200 00003E0B
	v_mul_u32_u24_dpp v41, v19, v68 row_newbcast:1 row_mask:0xf bank_mask:0xf// 000000011EA4: 105288FA FF015113
	v_mul_u32_u24_dpp v42, v19, v68 row_newbcast:5 row_mask:0xf bank_mask:0xf// 000000011EAC: 105488FA FF015513
	v_mul_u32_u24_dpp v43, v19, v68 row_newbcast:9 row_mask:0xf bank_mask:0xf// 000000011EB4: 105688FA FF015913
	v_mul_u32_u24_dpp v44, v19, v68 row_newbcast:13 row_mask:0xf bank_mask:0xf// 000000011EBC: 105888FA FF015D13
	v_add_u32_e32 v33, v41, v7                                 // 000000011EC4: 68420F29
	v_add_u32_e32 v34, v42, v7                                 // 000000011EC8: 68440F2A
	v_add_u32_e32 v35, v43, v7                                 // 000000011ECC: 68460F2B
	v_add_u32_e32 v36, v44, v7                                 // 000000011ED0: 68480F2C
	v_mul_f32_e32 v224, v63, v224                              // 000000011ED4: 0BC1C13F
	v_mul_f32_e32 v225, v63, v225                              // 000000011ED8: 0BC3C33F
	v_mul_f32_e32 v226, v63, v226                              // 000000011EDC: 0BC5C53F
	v_mul_f32_e32 v227, v63, v227                              // 000000011EE0: 0BC7C73F
	v_mul_f32_e32 v228, v63, v228                              // 000000011EE4: 0BC9C93F
	v_mul_f32_e32 v229, v63, v229                              // 000000011EE8: 0BCBCB3F
	v_mul_f32_e32 v230, v63, v230                              // 000000011EEC: 0BCDCD3F
	v_mul_f32_e32 v231, v63, v231                              // 000000011EF0: 0BCFCF3F
	s_waitcnt lgkmcnt(0)                                       // 000000011EF4: BF8CC07F
	s_barrier                                                  // 000000011EF8: BF8A0000
	ds_read_b32 v80, v10 offset:16896                          // 000000011EFC: D86C4200 5000000A
	ds_read_b32 v81, v10 offset:16960                          // 000000011F04: D86C4240 5100000A
	ds_read_b32 v82, v10 offset:17024                          // 000000011F0C: D86C4280 5200000A
	ds_read_b32 v83, v10 offset:17088                          // 000000011F14: D86C42C0 5300000A
	ds_read_b32 v84, v10 offset:17152                          // 000000011F1C: D86C4300 5400000A
	ds_read_b32 v85, v10 offset:17216                          // 000000011F24: D86C4340 5500000A
	ds_read_b32 v86, v10 offset:17280                          // 000000011F2C: D86C4380 5600000A
	ds_read_b32 v87, v10 offset:17344                          // 000000011F34: D86C43C0 5700000A
	ds_read_b32 v88, v10 offset:17408                          // 000000011F3C: D86C4400 5800000A
	ds_read_b32 v89, v10 offset:17472                          // 000000011F44: D86C4440 5900000A
	ds_read_b32 v90, v10 offset:17536                          // 000000011F4C: D86C4480 5A00000A
	ds_read_b32 v91, v10 offset:17600                          // 000000011F54: D86C44C0 5B00000A
	ds_read_b32 v92, v10 offset:17664                          // 000000011F5C: D86C4500 5C00000A
	ds_read_b32 v93, v10 offset:17728                          // 000000011F64: D86C4540 5D00000A
	ds_read_b32 v94, v10 offset:17792                          // 000000011F6C: D86C4580 5E00000A
	ds_read_b32 v95, v10 offset:17856                          // 000000011F74: D86C45C0 5F00000A
	v_mul_f32_e32 v192, v58, v192                              // 000000011F7C: 0B81813A
	v_mul_f32_e32 v193, v58, v193                              // 000000011F80: 0B83833A
	v_mul_f32_e32 v194, v58, v194                              // 000000011F84: 0B85853A
	v_mul_f32_e32 v195, v58, v195                              // 000000011F88: 0B87873A
	v_mul_f32_e32 v196, v58, v196                              // 000000011F8C: 0B89893A
	v_mul_f32_e32 v197, v58, v197                              // 000000011F90: 0B8B8B3A
	v_mul_f32_e32 v198, v58, v198                              // 000000011F94: 0B8D8D3A
	v_mul_f32_e32 v199, v58, v199                              // 000000011F98: 0B8F8F3A
	s_waitcnt lgkmcnt(0)                                       // 000000011F9C: BF8CC07F
	v_max3_f32 v62, v80, v81, v62                              // 000000011FA0: D1D3003E 04FAA350
	v_max3_f32 v62, v82, v83, v62                              // 000000011FA8: D1D3003E 04FAA752
	v_max3_f32 v62, v84, v85, v62                              // 000000011FB0: D1D3003E 04FAAB54
	v_max3_f32 v62, v86, v87, v62                              // 000000011FB8: D1D3003E 04FAAF56
	v_max3_f32 v62, v88, v89, v62                              // 000000011FC0: D1D3003E 04FAB358
	v_max3_f32 v62, v90, v91, v62                              // 000000011FC8: D1D3003E 04FAB75A
	v_max3_f32 v62, v92, v93, v62                              // 000000011FD0: D1D3003E 04FABB5C
	v_max3_f32 v62, v94, v95, v62                              // 000000011FD8: D1D3003E 04FABF5E
	v_mov_b32_e32 v41, 0xff800000                              // 000000011FE0: 7E5202FF FF800000
	v_cmp_eq_u32_e64 s[40:41], v41, v14                        // 000000011FE8: D0CA0028 00021D29
	s_nop 1                                                    // 000000011FF0: BF800001
	v_max_f32_e32 v18, v62, v14                                // 000000011FF4: 16241D3E
	v_mul_f32_e32 v67, s64, v18                                // 000000011FF8: 0A862440
	v_fma_f32 v128, v128, s64, -v67                            // 000000011FFC: D1CB0080 850C8180
	v_fma_f32 v129, v129, s64, -v67                            // 000000012004: D1CB0081 850C8181
	v_fma_f32 v130, v130, s64, -v67                            // 00000001200C: D1CB0082 850C8182
	v_fma_f32 v131, v131, s64, -v67                            // 000000012014: D1CB0083 850C8183
	v_fma_f32 v132, v132, s64, -v67                            // 00000001201C: D1CB0084 850C8184
	v_fma_f32 v133, v133, s64, -v67                            // 000000012024: D1CB0085 850C8185
	v_fma_f32 v134, v134, s64, -v67                            // 00000001202C: D1CB0086 850C8186
	v_fma_f32 v135, v135, s64, -v67                            // 000000012034: D1CB0087 850C8187
	v_fma_f32 v136, v136, s64, -v67                            // 00000001203C: D1CB0088 850C8188
	v_fma_f32 v137, v137, s64, -v67                            // 000000012044: D1CB0089 850C8189
	v_fma_f32 v138, v138, s64, -v67                            // 00000001204C: D1CB008A 850C818A
	v_fma_f32 v139, v139, s64, -v67                            // 000000012054: D1CB008B 850C818B
	v_fma_f32 v140, v140, s64, -v67                            // 00000001205C: D1CB008C 850C818C
	v_fma_f32 v141, v141, s64, -v67                            // 000000012064: D1CB008D 850C818D
	v_fma_f32 v142, v142, s64, -v67                            // 00000001206C: D1CB008E 850C818E
	v_fma_f32 v143, v143, s64, -v67                            // 000000012074: D1CB008F 850C818F
	v_exp_f32_e32 v128, v128                                   // 00000001207C: 7F004180
	v_exp_f32_e32 v129, v129                                   // 000000012080: 7F024181
	v_exp_f32_e32 v130, v130                                   // 000000012084: 7F044182
	v_exp_f32_e32 v131, v131                                   // 000000012088: 7F064183
	v_exp_f32_e32 v132, v132                                   // 00000001208C: 7F084184
	v_exp_f32_e32 v133, v133                                   // 000000012090: 7F0A4185
	v_exp_f32_e32 v134, v134                                   // 000000012094: 7F0C4186
	v_exp_f32_e32 v135, v135                                   // 000000012098: 7F0E4187
	v_exp_f32_e32 v136, v136                                   // 00000001209C: 7F104188
	v_exp_f32_e32 v137, v137                                   // 0000000120A0: 7F124189
	v_exp_f32_e32 v138, v138                                   // 0000000120A4: 7F14418A
	v_exp_f32_e32 v139, v139                                   // 0000000120A8: 7F16418B
	v_exp_f32_e32 v140, v140                                   // 0000000120AC: 7F18418C
	v_exp_f32_e32 v141, v141                                   // 0000000120B0: 7F1A418D
	v_exp_f32_e32 v142, v142                                   // 0000000120B4: 7F1C418E
	v_exp_f32_e32 v143, v143                                   // 0000000120B8: 7F1E418F
	v_mul_f32_dpp v240, v252, v128 quad_perm:[0,0,0,0] row_mask:0xf bank_mask:0xf// 0000000120BC: 0BE100FA FF0000FC
	v_mul_f32_dpp v241, v252, v129 quad_perm:[1,1,1,1] row_mask:0xf bank_mask:0xf// 0000000120C4: 0BE302FA FF0055FC
	v_mul_f32_dpp v242, v252, v130 quad_perm:[2,2,2,2] row_mask:0xf bank_mask:0xf// 0000000120CC: 0BE504FA FF00AAFC
	v_mul_f32_dpp v243, v252, v131 quad_perm:[3,3,3,3] row_mask:0xf bank_mask:0xf// 0000000120D4: 0BE706FA FF00FFFC
	v_mul_f32_dpp v244, v253, v132 quad_perm:[0,0,0,0] row_mask:0xf bank_mask:0xf// 0000000120DC: 0BE908FA FF0000FD
	v_mul_f32_dpp v245, v253, v133 quad_perm:[1,1,1,1] row_mask:0xf bank_mask:0xf// 0000000120E4: 0BEB0AFA FF0055FD
	v_mul_f32_dpp v246, v253, v134 quad_perm:[2,2,2,2] row_mask:0xf bank_mask:0xf// 0000000120EC: 0BED0CFA FF00AAFD
	v_mul_f32_dpp v247, v253, v135 quad_perm:[3,3,3,3] row_mask:0xf bank_mask:0xf// 0000000120F4: 0BEF0EFA FF00FFFD
	v_mul_f32_dpp v248, v254, v136 quad_perm:[0,0,0,0] row_mask:0xf bank_mask:0xf// 0000000120FC: 0BF110FA FF0000FE
	v_mul_f32_dpp v249, v254, v137 quad_perm:[1,1,1,1] row_mask:0xf bank_mask:0xf// 000000012104: 0BF312FA FF0055FE
	v_mul_f32_dpp v250, v254, v138 quad_perm:[2,2,2,2] row_mask:0xf bank_mask:0xf// 00000001210C: 0BF514FA FF00AAFE
	v_mul_f32_dpp v251, v254, v139 quad_perm:[3,3,3,3] row_mask:0xf bank_mask:0xf// 000000012114: 0BF716FA FF00FFFE
	v_mul_f32_dpp v252, v255, v140 quad_perm:[0,0,0,0] row_mask:0xf bank_mask:0xf// 00000001211C: 0BF918FA FF0000FF
	v_mul_f32_dpp v253, v255, v141 quad_perm:[1,1,1,1] row_mask:0xf bank_mask:0xf// 000000012124: 0BFB1AFA FF0055FF
	v_mul_f32_dpp v254, v255, v142 quad_perm:[2,2,2,2] row_mask:0xf bank_mask:0xf// 00000001212C: 0BFD1CFA FF00AAFF
	v_mul_f32_dpp v255, v255, v143 quad_perm:[3,3,3,3] row_mask:0xf bank_mask:0xf// 000000012134: 0BFF1EFA FF00FFFF
	v_mov_b32_e32 v62, 0x358637bd                              // 00000001213C: 7E7C02FF 358637BD
	v_max3_f32 v62, |v240|, |v241|, v62                        // 000000012144: D1D3033E 04FBE3F0
	v_max3_f32 v62, |v242|, |v243|, v62                        // 00000001214C: D1D3033E 04FBE7F2
	v_max3_f32 v62, |v244|, |v245|, v62                        // 000000012154: D1D3033E 04FBEBF4
	v_max3_f32 v62, |v246|, |v247|, v62                        // 00000001215C: D1D3033E 04FBEFF6
	v_max3_f32 v62, |v248|, |v249|, v62                        // 000000012164: D1D3033E 04FBF3F8
	v_max3_f32 v62, |v250|, |v251|, v62                        // 00000001216C: D1D3033E 04FBF7FA
	v_max3_f32 v62, |v252|, |v253|, v62                        // 000000012174: D1D3033E 04FBFBFC
	v_max3_f32 v62, |v254|, |v255|, v62                        // 00000001217C: D1D3033E 04FBFFFE
	ds_write_b32 v11, v62 offset:20992                         // 000000012184: D81A5200 00003E0B
	v_sub_f32_e32 v63, v14, v18                                // 00000001218C: 047E250E
	v_cndmask_b32_e64 v63, v63, 0, s[40:41]                    // 000000012190: D100003F 00A1013F
	v_mov_b32_e32 v14, v18                                     // 000000012198: 7E1C0312
	v_mul_f32_e32 v63, s64, v63                                // 00000001219C: 0A7E7E40
	v_exp_f32_e32 v63, v63                                     // 0000000121A0: 7E7E413F
	s_waitcnt lgkmcnt(0)                                       // 0000000121A4: BF8CC07F
	s_barrier                                                  // 0000000121A8: BF8A0000
	ds_read_b32 v80, v10 offset:20992                          // 0000000121AC: D86C5200 5000000A
	ds_read_b32 v81, v10 offset:21056                          // 0000000121B4: D86C5240 5100000A
	ds_read_b32 v82, v10 offset:21120                          // 0000000121BC: D86C5280 5200000A
	ds_read_b32 v83, v10 offset:21184                          // 0000000121C4: D86C52C0 5300000A
	ds_read_b32 v84, v10 offset:21248                          // 0000000121CC: D86C5300 5400000A
	ds_read_b32 v85, v10 offset:21312                          // 0000000121D4: D86C5340 5500000A
	ds_read_b32 v86, v10 offset:21376                          // 0000000121DC: D86C5380 5600000A
	ds_read_b32 v87, v10 offset:21440                          // 0000000121E4: D86C53C0 5700000A
	ds_read_b32 v88, v10 offset:21504                          // 0000000121EC: D86C5400 5800000A
	ds_read_b32 v89, v10 offset:21568                          // 0000000121F4: D86C5440 5900000A
	ds_read_b32 v90, v10 offset:21632                          // 0000000121FC: D86C5480 5A00000A
	ds_read_b32 v91, v10 offset:21696                          // 000000012204: D86C54C0 5B00000A
	ds_read_b32 v92, v10 offset:21760                          // 00000001220C: D86C5500 5C00000A
	ds_read_b32 v93, v10 offset:21824                          // 000000012214: D86C5540 5D00000A
	ds_read_b32 v94, v10 offset:21888                          // 00000001221C: D86C5580 5E00000A
	ds_read_b32 v95, v10 offset:21952                          // 000000012224: D86C55C0 5F00000A
	v_mul_f32_e32 v47, v63, v47                                // 00000001222C: 0A5E5F3F
	v_mov_b32_e32 v18, v128                                    // 000000012230: 7E240380
	v_add_f32_e32 v18, v129, v18                               // 000000012234: 02242581
	v_add_f32_e32 v18, v130, v18                               // 000000012238: 02242582
	v_add_f32_e32 v18, v131, v18                               // 00000001223C: 02242583
	v_add_f32_e32 v18, v132, v18                               // 000000012240: 02242584
	v_add_f32_e32 v18, v133, v18                               // 000000012244: 02242585
	;; [unrolled: 1-line block ×3, first 2 shown]
	v_add_f32_e32 v18, v135, v18                               // 00000001224C: 02242587
	v_add_f32_e32 v18, v136, v18                               // 000000012250: 02242588
	v_add_f32_e32 v18, v137, v18                               // 000000012254: 02242589
	v_add_f32_e32 v18, v138, v18                               // 000000012258: 0224258A
	v_add_f32_e32 v18, v139, v18                               // 00000001225C: 0224258B
	v_add_f32_e32 v18, v140, v18                               // 000000012260: 0224258C
	v_add_f32_e32 v18, v141, v18                               // 000000012264: 0224258D
	v_add_f32_e32 v18, v142, v18                               // 000000012268: 0224258E
	v_add_f32_e32 v18, v143, v18                               // 00000001226C: 0224258F
	v_add_f32_e32 v47, v18, v47                                // 000000012270: 025E5F12
	s_waitcnt lgkmcnt(0)                                       // 000000012274: BF8CC07F
	v_max3_f32 v62, |v80|, |v81|, v62                          // 000000012278: D1D3033E 04FAA350
	v_max3_f32 v62, |v82|, |v83|, v62                          // 000000012280: D1D3033E 04FAA752
	v_max3_f32 v62, |v84|, |v85|, v62                          // 000000012288: D1D3033E 04FAAB54
	v_max3_f32 v62, |v86|, |v87|, v62                          // 000000012290: D1D3033E 04FAAF56
	v_max3_f32 v62, |v88|, |v89|, v62                          // 000000012298: D1D3033E 04FAB358
	v_max3_f32 v62, |v90|, |v91|, v62                          // 0000000122A0: D1D3033E 04FAB75A
	v_max3_f32 v62, |v92|, |v93|, v62                          // 0000000122A8: D1D3033E 04FABB5C
	v_max3_f32 v62, |v94|, |v95|, v62                          // 0000000122B0: D1D3033E 04FABF5E
	s_nop 2                                                    // 0000000122B8: BF800002
	v_rcp_f32_e32 v62, v62                                     // 0000000122BC: 7E7C453E
	s_nop 1                                                    // 0000000122C0: BF800001
	v_mul_f32_e32 v62, 0x43e00000, v62                         // 0000000122C4: 0A7C7CFF 43E00000
	v_mul_f32_e32 v128, v62, v240                              // 0000000122CC: 0B01E13E
	v_mul_f32_e32 v129, v62, v241                              // 0000000122D0: 0B03E33E
	v_mul_f32_e32 v130, v62, v242                              // 0000000122D4: 0B05E53E
	v_mul_f32_e32 v131, v62, v243                              // 0000000122D8: 0B07E73E
	v_mul_f32_e32 v132, v62, v244                              // 0000000122DC: 0B09E93E
	v_mul_f32_e32 v133, v62, v245                              // 0000000122E0: 0B0BEB3E
	v_mul_f32_e32 v134, v62, v246                              // 0000000122E4: 0B0DED3E
	v_mul_f32_e32 v135, v62, v247                              // 0000000122E8: 0B0FEF3E
	v_mul_f32_e32 v136, v62, v248                              // 0000000122EC: 0B11F13E
	v_mul_f32_e32 v137, v62, v249                              // 0000000122F0: 0B13F33E
	v_mul_f32_e32 v138, v62, v250                              // 0000000122F4: 0B15F53E
	v_mul_f32_e32 v139, v62, v251                              // 0000000122F8: 0B17F73E
	v_mul_f32_e32 v140, v62, v252                              // 0000000122FC: 0B19F93E
	v_mul_f32_e32 v141, v62, v253                              // 000000012300: 0B1BFB3E
	v_mul_f32_e32 v142, v62, v254                              // 000000012304: 0B1DFD3E
	v_mul_f32_e32 v143, v62, v255                              // 000000012308: 0B1FFF3E
	v_cvt_pk_fp8_f32 v128, v128, v129                          // 00000001230C: D2A20080 00030380
	v_cvt_pk_fp8_f32 v128, v130, v131 op_sel:[0,0,1]           // 000000012314: D2A24080 00030782
	v_cvt_pk_fp8_f32 v129, v132, v133                          // 00000001231C: D2A20081 00030B84
	v_cvt_pk_fp8_f32 v129, v134, v135 op_sel:[0,0,1]           // 000000012324: D2A24081 00030F86
	v_cvt_pk_fp8_f32 v130, v136, v137                          // 00000001232C: D2A20082 00031388
	v_cvt_pk_fp8_f32 v130, v138, v139 op_sel:[0,0,1]           // 000000012334: D2A24082 0003178A
	v_cvt_pk_fp8_f32 v131, v140, v141                          // 00000001233C: D2A20083 00031B8C
	v_cvt_pk_fp8_f32 v131, v142, v143 op_sel:[0,0,1]           // 000000012344: D2A24083 00031F8E
	ds_write_b32 v13, v128 offset:25088                        // 00000001234C: D81A6200 0000800D
	ds_write_b32 v13, v129 offset:26112                        // 000000012354: D81A6600 0000810D
	ds_write_b32 v13, v130 offset:27136                        // 00000001235C: D81A6A00 0000820D
	ds_write_b32 v13, v131 offset:28160                        // 000000012364: D81A6E00 0000830D
	v_add_f32_e32 v224, v224, v192                             // 00000001236C: 03C181E0
	v_add_f32_e32 v225, v225, v193                             // 000000012370: 03C383E1
	v_add_f32_e32 v226, v226, v194                             // 000000012374: 03C585E2
	v_add_f32_e32 v227, v227, v195                             // 000000012378: 03C787E3
	v_add_f32_e32 v228, v228, v196                             // 00000001237C: 03C989E4
	v_add_f32_e32 v229, v229, v197                             // 000000012380: 03CB8BE5
	v_add_f32_e32 v230, v230, v198                             // 000000012384: 03CD8DE6
	v_add_f32_e32 v231, v231, v199                             // 000000012388: 03CF8FE7
	v_rcp_f32_e32 v58, v62                                     // 00000001238C: 7E74453E
	s_waitcnt lgkmcnt(0)                                       // 000000012390: BF8CC07F
	s_barrier                                                  // 000000012394: BF8A0000
	ds_read_b64 v[128:129], v12 offset:25088                   // 000000012398: D8EC6200 8000000C
	ds_read_b64 v[130:131], v12 offset:25216                   // 0000000123A0: D8EC6280 8200000C
	ds_read_b64 v[132:133], v12 offset:26112                   // 0000000123A8: D8EC6600 8400000C
	ds_read_b64 v[134:135], v12 offset:26240                   // 0000000123B0: D8EC6680 8600000C
	ds_read_b64 v[136:137], v12 offset:27136                   // 0000000123B8: D8EC6A00 8800000C
	ds_read_b64 v[138:139], v12 offset:27264                   // 0000000123C0: D8EC6A80 8A00000C
	ds_read_b64 v[140:141], v12 offset:28160                   // 0000000123C8: D8EC6E00 8C00000C
	ds_read_b64 v[142:143], v12 offset:28288                   // 0000000123D0: D8EC6E80 8E00000C
	v_mov_b32_dpp v41, v53 row_shr:4 row_mask:0xf bank_mask:0xf// 0000000123D8: 7E5202FA FF011435
	v_mov_b32_dpp v42, v53 row_shl:4 row_mask:0xf bank_mask:0xf// 0000000123E0: 7E5402FA FF010435
	v_cndmask_b32_e64 v248, v53, v41, s[44:45]                 // 0000000123E8: D10000F8 00B25335
	v_cndmask_b32_e64 v249, v42, v53, s[44:45]                 // 0000000123F0: D10000F9 00B26B2A
	v_mov_b32_dpp v41, v248 row_shr:8 row_mask:0xf bank_mask:0xf// 0000000123F8: 7E5202FA FF0118F8
	v_mov_b32_dpp v42, v248 row_shl:8 row_mask:0xf bank_mask:0xf// 000000012400: 7E5402FA FF0108F8
	v_mov_b32_dpp v43, v249 row_shr:8 row_mask:0xf bank_mask:0xf// 000000012408: 7E5602FA FF0118F9
	v_mov_b32_dpp v44, v249 row_shl:8 row_mask:0xf bank_mask:0xf// 000000012410: 7E5802FA FF0108F9
	v_mov_b32_e32 v45, v248                                    // 000000012418: 7E5A03F8
	v_mov_b32_e32 v46, v249                                    // 00000001241C: 7E5C03F9
	v_cndmask_b32_e64 v248, v45, v41, s[42:43]                 // 000000012420: D10000F8 00AA532D
	v_cndmask_b32_e64 v250, v45, v42, s[78:79]                 // 000000012428: D10000FA 013A552D
	v_cndmask_b32_e64 v249, v46, v43, s[42:43]                 // 000000012430: D10000F9 00AA572E
	v_cndmask_b32_e64 v251, v46, v44, s[78:79]                 // 000000012438: D10000FB 013A592E
	v_mov_b32_dpp v41, v73 row_shr:4 row_mask:0xf bank_mask:0xf// 000000012440: 7E5202FA FF011449
	v_mov_b32_dpp v42, v73 row_shl:4 row_mask:0xf bank_mask:0xf// 000000012448: 7E5402FA FF010449
	v_cndmask_b32_e64 v252, v73, v41, s[44:45]                 // 000000012450: D10000FC 00B25349
	v_cndmask_b32_e64 v253, v42, v73, s[44:45]                 // 000000012458: D10000FD 00B2932A
	v_mov_b32_dpp v41, v252 row_shr:8 row_mask:0xf bank_mask:0xf// 000000012460: 7E5202FA FF0118FC
	v_mov_b32_dpp v42, v252 row_shl:8 row_mask:0xf bank_mask:0xf// 000000012468: 7E5402FA FF0108FC
	v_mov_b32_dpp v43, v253 row_shr:8 row_mask:0xf bank_mask:0xf// 000000012470: 7E5602FA FF0118FD
	v_mov_b32_dpp v44, v253 row_shl:8 row_mask:0xf bank_mask:0xf// 000000012478: 7E5802FA FF0108FD
	v_mov_b32_e32 v45, v252                                    // 000000012480: 7E5A03FC
	v_mov_b32_e32 v46, v253                                    // 000000012484: 7E5C03FD
	v_cndmask_b32_e64 v252, v45, v41, s[42:43]                 // 000000012488: D10000FC 00AA532D
	v_cndmask_b32_e64 v254, v45, v42, s[78:79]                 // 000000012490: D10000FE 013A552D
	v_cndmask_b32_e64 v253, v46, v43, s[42:43]                 // 000000012498: D10000FD 00AA572E
	v_cndmask_b32_e64 v255, v46, v44, s[78:79]                 // 0000000124A0: D10000FF 013A592E
	v_mul_f32_e32 v144, v55, v144                              // 0000000124A8: 0B212137
	v_mul_f32_e32 v145, v55, v145                              // 0000000124AC: 0B232337
	v_mul_f32_e32 v146, v55, v146                              // 0000000124B0: 0B252537
	v_mul_f32_e32 v147, v55, v147                              // 0000000124B4: 0B272737
	v_mul_f32_e32 v148, v55, v148                              // 0000000124B8: 0B292937
	v_mul_f32_e32 v149, v55, v149                              // 0000000124BC: 0B2B2B37
	v_mul_f32_e32 v150, v55, v150                              // 0000000124C0: 0B2D2D37
	v_mul_f32_e32 v151, v55, v151                              // 0000000124C4: 0B2F2F37
	v_mul_f32_e32 v152, v55, v152                              // 0000000124C8: 0B313137
	v_mul_f32_e32 v153, v55, v153                              // 0000000124CC: 0B333337
	v_mul_f32_e32 v154, v55, v154                              // 0000000124D0: 0B353537
	v_mul_f32_e32 v155, v55, v155                              // 0000000124D4: 0B373737
	v_mul_f32_e32 v156, v55, v156                              // 0000000124D8: 0B393937
	v_mul_f32_e32 v157, v55, v157                              // 0000000124DC: 0B3B3B37
	v_mul_f32_e32 v158, v55, v158                              // 0000000124E0: 0B3D3D37
	v_mul_f32_e32 v159, v55, v159                              // 0000000124E4: 0B3F3F37
	v_mul_f32_dpp v144, v248, v144 quad_perm:[0,0,0,0] row_mask:0xf bank_mask:0xf// 0000000124E8: 0B2120FA FF0000F8
	v_mul_f32_dpp v145, v248, v145 quad_perm:[1,1,1,1] row_mask:0xf bank_mask:0xf// 0000000124F0: 0B2322FA FF0055F8
	v_mul_f32_dpp v146, v248, v146 quad_perm:[2,2,2,2] row_mask:0xf bank_mask:0xf// 0000000124F8: 0B2524FA FF00AAF8
	v_mul_f32_dpp v147, v248, v147 quad_perm:[3,3,3,3] row_mask:0xf bank_mask:0xf// 000000012500: 0B2726FA FF00FFF8
	v_mul_f32_dpp v148, v249, v148 quad_perm:[0,0,0,0] row_mask:0xf bank_mask:0xf// 000000012508: 0B2928FA FF0000F9
	v_mul_f32_dpp v149, v249, v149 quad_perm:[1,1,1,1] row_mask:0xf bank_mask:0xf// 000000012510: 0B2B2AFA FF0055F9
	v_mul_f32_dpp v150, v249, v150 quad_perm:[2,2,2,2] row_mask:0xf bank_mask:0xf// 000000012518: 0B2D2CFA FF00AAF9
	v_mul_f32_dpp v151, v249, v151 quad_perm:[3,3,3,3] row_mask:0xf bank_mask:0xf// 000000012520: 0B2F2EFA FF00FFF9
	v_mul_f32_dpp v152, v250, v152 quad_perm:[0,0,0,0] row_mask:0xf bank_mask:0xf// 000000012528: 0B3130FA FF0000FA
	v_mul_f32_dpp v153, v250, v153 quad_perm:[1,1,1,1] row_mask:0xf bank_mask:0xf// 000000012530: 0B3332FA FF0055FA
	v_mul_f32_dpp v154, v250, v154 quad_perm:[2,2,2,2] row_mask:0xf bank_mask:0xf// 000000012538: 0B3534FA FF00AAFA
	v_mul_f32_dpp v155, v250, v155 quad_perm:[3,3,3,3] row_mask:0xf bank_mask:0xf// 000000012540: 0B3736FA FF00FFFA
	v_mul_f32_dpp v156, v251, v156 quad_perm:[0,0,0,0] row_mask:0xf bank_mask:0xf// 000000012548: 0B3938FA FF0000FB
	v_mul_f32_dpp v157, v251, v157 quad_perm:[1,1,1,1] row_mask:0xf bank_mask:0xf// 000000012550: 0B3B3AFA FF0055FB
	v_mul_f32_dpp v158, v251, v158 quad_perm:[2,2,2,2] row_mask:0xf bank_mask:0xf// 000000012558: 0B3D3CFA FF00AAFB
	v_mul_f32_dpp v159, v251, v159 quad_perm:[3,3,3,3] row_mask:0xf bank_mask:0xf// 000000012560: 0B3F3EFA FF00FFFB
	s_cmp_le_i32 s90, s89                                      // 000000012568: BF05595A
	s_cbranch_scc1 label_414F                                  // 00000001256C: BF850073
	v_mov_b32_e32 v69, 0xff800000                              // 000000012570: 7E8A02FF FF800000
	s_mov_b32 s60, s90                                         // 000000012578: BEBC005A
	s_add_u32 s61, s89, 0xff                                   // 00000001257C: 803DFF59 000000FF
	v_mov_b32_e32 v41, s61                                     // 000000012584: 7E52023D
	v_lshrrev_b32_e32 v240, 4, v0                              // 000000012588: 21E00084
	v_mul_i32_i24_e32 v240, 4, v240                            // 00000001258C: 0DE1E084
	v_add_u32_e32 v240, s60, v240                              // 000000012590: 69E1E03C
	v_and_b32_e32 v42, 15, v0                                  // 000000012594: 2654008F
	v_lshrrev_b32_e32 v42, 3, v42                              // 000000012598: 20545483
	s_mov_b32 s61, 2                                           // 00000001259C: BEBD0082
	s_mul_i32 s60, 16, s7                                      // 0000000125A0: 923C0790
	v_add_u32_e32 v42, s61, v42                                // 0000000125A4: 6854543D
	v_sub_u32_e32 v240, v240, v42                              // 0000000125A8: 6BE055F0
	v_add_u32_e32 v240, s60, v240                              // 0000000125AC: 69E1E03C
	v_add_u32_e32 v241, 1, v240                                // 0000000125B0: 69E3E081
	v_add_u32_e32 v242, 2, v240                                // 0000000125B4: 69E5E082
	v_add_u32_e32 v243, 3, v240                                // 0000000125B8: 69E7E083
	v_cmp_le_u32_e64 s[40:41], v240, v41                       // 0000000125BC: D0CB0028 000253F0
	v_add_u32_e32 v240, 64, v240                               // 0000000125C4: 69E1E0C0
	s_nop 0                                                    // 0000000125C8: BF800000
	v_cndmask_b32_e64 v144, v69, v144, s[40:41]                // 0000000125CC: D1000090 00A32145
	v_cmp_le_u32_e64 s[40:41], v241, v41                       // 0000000125D4: D0CB0028 000253F1
	v_add_u32_e32 v241, 64, v241                               // 0000000125DC: 69E3E2C0
	s_nop 0                                                    // 0000000125E0: BF800000
	v_cndmask_b32_e64 v145, v69, v145, s[40:41]                // 0000000125E4: D1000091 00A32345
	v_cmp_le_u32_e64 s[40:41], v242, v41                       // 0000000125EC: D0CB0028 000253F2
	v_add_u32_e32 v242, 64, v242                               // 0000000125F4: 69E5E4C0
	s_nop 0                                                    // 0000000125F8: BF800000
	v_cndmask_b32_e64 v146, v69, v146, s[40:41]                // 0000000125FC: D1000092 00A32545
	v_cmp_le_u32_e64 s[40:41], v243, v41                       // 000000012604: D0CB0028 000253F3
	v_add_u32_e32 v243, 64, v243                               // 00000001260C: 69E7E6C0
	s_nop 0                                                    // 000000012610: BF800000
	v_cndmask_b32_e64 v147, v69, v147, s[40:41]                // 000000012614: D1000093 00A32745
	v_cmp_le_u32_e64 s[40:41], v240, v41                       // 00000001261C: D0CB0028 000253F0
	v_add_u32_e32 v240, 64, v240                               // 000000012624: 69E1E0C0
	s_nop 0                                                    // 000000012628: BF800000
	v_cndmask_b32_e64 v148, v69, v148, s[40:41]                // 00000001262C: D1000094 00A32945
	v_cmp_le_u32_e64 s[40:41], v241, v41                       // 000000012634: D0CB0028 000253F1
	v_add_u32_e32 v241, 64, v241                               // 00000001263C: 69E3E2C0
	s_nop 0                                                    // 000000012640: BF800000
	v_cndmask_b32_e64 v149, v69, v149, s[40:41]                // 000000012644: D1000095 00A32B45
	v_cmp_le_u32_e64 s[40:41], v242, v41                       // 00000001264C: D0CB0028 000253F2
	v_add_u32_e32 v242, 64, v242                               // 000000012654: 69E5E4C0
	s_nop 0                                                    // 000000012658: BF800000
	v_cndmask_b32_e64 v150, v69, v150, s[40:41]                // 00000001265C: D1000096 00A32D45
	v_cmp_le_u32_e64 s[40:41], v243, v41                       // 000000012664: D0CB0028 000253F3
	v_add_u32_e32 v243, 64, v243                               // 00000001266C: 69E7E6C0
	s_nop 0                                                    // 000000012670: BF800000
	v_cndmask_b32_e64 v151, v69, v151, s[40:41]                // 000000012674: D1000097 00A32F45
	v_cmp_le_u32_e64 s[40:41], v240, v41                       // 00000001267C: D0CB0028 000253F0
	v_add_u32_e32 v240, 64, v240                               // 000000012684: 69E1E0C0
	s_nop 0                                                    // 000000012688: BF800000
	v_cndmask_b32_e64 v152, v69, v152, s[40:41]                // 00000001268C: D1000098 00A33145
	v_cmp_le_u32_e64 s[40:41], v241, v41                       // 000000012694: D0CB0028 000253F1
	v_add_u32_e32 v241, 64, v241                               // 00000001269C: 69E3E2C0
	s_nop 0                                                    // 0000000126A0: BF800000
	v_cndmask_b32_e64 v153, v69, v153, s[40:41]                // 0000000126A4: D1000099 00A33345
	v_cmp_le_u32_e64 s[40:41], v242, v41                       // 0000000126AC: D0CB0028 000253F2
	v_add_u32_e32 v242, 64, v242                               // 0000000126B4: 69E5E4C0
	s_nop 0                                                    // 0000000126B8: BF800000
	v_cndmask_b32_e64 v154, v69, v154, s[40:41]                // 0000000126BC: D100009A 00A33545
	v_cmp_le_u32_e64 s[40:41], v243, v41                       // 0000000126C4: D0CB0028 000253F3
	v_add_u32_e32 v243, 64, v243                               // 0000000126CC: 69E7E6C0
	s_nop 0                                                    // 0000000126D0: BF800000
	v_cndmask_b32_e64 v155, v69, v155, s[40:41]                // 0000000126D4: D100009B 00A33745
	v_cmp_le_u32_e64 s[40:41], v240, v41                       // 0000000126DC: D0CB0028 000253F0
	v_add_u32_e32 v240, 64, v240                               // 0000000126E4: 69E1E0C0
	s_nop 0                                                    // 0000000126E8: BF800000
	v_cndmask_b32_e64 v156, v69, v156, s[40:41]                // 0000000126EC: D100009C 00A33945
	v_cmp_le_u32_e64 s[40:41], v241, v41                       // 0000000126F4: D0CB0028 000253F1
	v_add_u32_e32 v241, 64, v241                               // 0000000126FC: 69E3E2C0
	s_nop 0                                                    // 000000012700: BF800000
	v_cndmask_b32_e64 v157, v69, v157, s[40:41]                // 000000012704: D100009D 00A33B45
	v_cmp_le_u32_e64 s[40:41], v242, v41                       // 00000001270C: D0CB0028 000253F2
	v_add_u32_e32 v242, 64, v242                               // 000000012714: 69E5E4C0
	s_nop 0                                                    // 000000012718: BF800000
	v_cndmask_b32_e64 v158, v69, v158, s[40:41]                // 00000001271C: D100009E 00A33D45
	v_cmp_le_u32_e64 s[40:41], v243, v41                       // 000000012724: D0CB0028 000253F3
	v_add_u32_e32 v243, 64, v243                               // 00000001272C: 69E7E6C0
	s_nop 0                                                    // 000000012730: BF800000
	v_cndmask_b32_e64 v159, v69, v159, s[40:41]                // 000000012734: D100009F 00A33F45

000000000001273c <label_414F>:
	s_add_u32 s90, s91, s90                                    // 00000001273C: 805A5A5B
	s_and_b32 s60, s72, 0xff                                   // 000000012740: 863CFF48 000000FF
	v_mov_b32_e32 v42, s60                                     // 000000012748: 7E54023C
	v_lshrrev_b32_e32 v240, 4, v0                              // 00000001274C: 21E00084
	v_mul_i32_i24_e32 v240, 4, v240                            // 000000012750: 0DE1E084
	s_mul_i32 s60, s7, 16                                      // 000000012754: 923C9007
	v_add_u32_e32 v240, s60, v240                              // 000000012758: 69E1E03C
	v_add_u32_e32 v241, 1, v240                                // 00000001275C: 69E3E081
	v_add_u32_e32 v242, 2, v240                                // 000000012760: 69E5E082
	v_add_u32_e32 v243, 3, v240                                // 000000012764: 69E7E083
	v_mov_b32_e32 v41, 0xff800000                              // 000000012768: 7E5202FF FF800000
	v_cmp_lt_u32_e64 s[40:41], v240, v42                       // 000000012770: D0C90028 000255F0
	v_add_u32_e32 v240, 64, v240                               // 000000012778: 69E1E0C0
	s_nop 0                                                    // 00000001277C: BF800000
	v_cndmask_b32_e64 v144, v41, v144, s[40:41]                // 000000012780: D1000090 00A32129
	v_cmp_lt_u32_e64 s[40:41], v241, v42                       // 000000012788: D0C90028 000255F1
	v_add_u32_e32 v241, 64, v241                               // 000000012790: 69E3E2C0
	s_nop 0                                                    // 000000012794: BF800000
	v_cndmask_b32_e64 v145, v41, v145, s[40:41]                // 000000012798: D1000091 00A32329
	v_cmp_lt_u32_e64 s[40:41], v242, v42                       // 0000000127A0: D0C90028 000255F2
	v_add_u32_e32 v242, 64, v242                               // 0000000127A8: 69E5E4C0
	s_nop 0                                                    // 0000000127AC: BF800000
	v_cndmask_b32_e64 v146, v41, v146, s[40:41]                // 0000000127B0: D1000092 00A32529
	v_cmp_lt_u32_e64 s[40:41], v243, v42                       // 0000000127B8: D0C90028 000255F3
	v_add_u32_e32 v243, 64, v243                               // 0000000127C0: 69E7E6C0
	s_nop 0                                                    // 0000000127C4: BF800000
	v_cndmask_b32_e64 v147, v41, v147, s[40:41]                // 0000000127C8: D1000093 00A32729
	v_cmp_lt_u32_e64 s[40:41], v240, v42                       // 0000000127D0: D0C90028 000255F0
	v_add_u32_e32 v240, 64, v240                               // 0000000127D8: 69E1E0C0
	s_nop 0                                                    // 0000000127DC: BF800000
	v_cndmask_b32_e64 v148, v41, v148, s[40:41]                // 0000000127E0: D1000094 00A32929
	v_cmp_lt_u32_e64 s[40:41], v241, v42                       // 0000000127E8: D0C90028 000255F1
	v_add_u32_e32 v241, 64, v241                               // 0000000127F0: 69E3E2C0
	s_nop 0                                                    // 0000000127F4: BF800000
	v_cndmask_b32_e64 v149, v41, v149, s[40:41]                // 0000000127F8: D1000095 00A32B29
	v_cmp_lt_u32_e64 s[40:41], v242, v42                       // 000000012800: D0C90028 000255F2
	v_add_u32_e32 v242, 64, v242                               // 000000012808: 69E5E4C0
	s_nop 0                                                    // 00000001280C: BF800000
	v_cndmask_b32_e64 v150, v41, v150, s[40:41]                // 000000012810: D1000096 00A32D29
	v_cmp_lt_u32_e64 s[40:41], v243, v42                       // 000000012818: D0C90028 000255F3
	v_add_u32_e32 v243, 64, v243                               // 000000012820: 69E7E6C0
	s_nop 0                                                    // 000000012824: BF800000
	v_cndmask_b32_e64 v151, v41, v151, s[40:41]                // 000000012828: D1000097 00A32F29
	v_cmp_lt_u32_e64 s[40:41], v240, v42                       // 000000012830: D0C90028 000255F0
	v_add_u32_e32 v240, 64, v240                               // 000000012838: 69E1E0C0
	s_nop 0                                                    // 00000001283C: BF800000
	v_cndmask_b32_e64 v152, v41, v152, s[40:41]                // 000000012840: D1000098 00A33129
	v_cmp_lt_u32_e64 s[40:41], v241, v42                       // 000000012848: D0C90028 000255F1
	v_add_u32_e32 v241, 64, v241                               // 000000012850: 69E3E2C0
	s_nop 0                                                    // 000000012854: BF800000
	v_cndmask_b32_e64 v153, v41, v153, s[40:41]                // 000000012858: D1000099 00A33329
	v_cmp_lt_u32_e64 s[40:41], v242, v42                       // 000000012860: D0C90028 000255F2
	v_add_u32_e32 v242, 64, v242                               // 000000012868: 69E5E4C0
	s_nop 0                                                    // 00000001286C: BF800000
	v_cndmask_b32_e64 v154, v41, v154, s[40:41]                // 000000012870: D100009A 00A33529
	v_cmp_lt_u32_e64 s[40:41], v243, v42                       // 000000012878: D0C90028 000255F3
	v_add_u32_e32 v243, 64, v243                               // 000000012880: 69E7E6C0
	s_nop 0                                                    // 000000012884: BF800000
	v_cndmask_b32_e64 v155, v41, v155, s[40:41]                // 000000012888: D100009B 00A33729
	v_cmp_lt_u32_e64 s[40:41], v240, v42                       // 000000012890: D0C90028 000255F0
	v_add_u32_e32 v240, 64, v240                               // 000000012898: 69E1E0C0
	s_nop 0                                                    // 00000001289C: BF800000
	v_cndmask_b32_e64 v156, v41, v156, s[40:41]                // 0000000128A0: D100009C 00A33929
	v_cmp_lt_u32_e64 s[40:41], v241, v42                       // 0000000128A8: D0C90028 000255F1
	v_add_u32_e32 v241, 64, v241                               // 0000000128B0: 69E3E2C0
	s_nop 0                                                    // 0000000128B4: BF800000
	v_cndmask_b32_e64 v157, v41, v157, s[40:41]                // 0000000128B8: D100009D 00A33B29
	v_cmp_lt_u32_e64 s[40:41], v242, v42                       // 0000000128C0: D0C90028 000255F2
	v_add_u32_e32 v242, 64, v242                               // 0000000128C8: 69E5E4C0
	s_nop 0                                                    // 0000000128CC: BF800000
	v_cndmask_b32_e64 v158, v41, v158, s[40:41]                // 0000000128D0: D100009E 00A33D29
	v_cmp_lt_u32_e64 s[40:41], v243, v42                       // 0000000128D8: D0C90028 000255F3
	v_add_u32_e32 v243, 64, v243                               // 0000000128E0: 69E7E6C0
	s_nop 0                                                    // 0000000128E4: BF800000
	v_cndmask_b32_e64 v159, v41, v159, s[40:41]                // 0000000128E8: D100009F 00A33F29
	v_mov_b32_e32 v62, v144                                    // 0000000128F0: 7E7C0390
	v_max3_f32 v62, v144, v145, v62                            // 0000000128F4: D1D3003E 04FB2390
	v_max3_f32 v62, v146, v147, v62                            // 0000000128FC: D1D3003E 04FB2792
	v_max3_f32 v62, v148, v149, v62                            // 000000012904: D1D3003E 04FB2B94
	v_max3_f32 v62, v150, v151, v62                            // 00000001290C: D1D3003E 04FB2F96
	v_max3_f32 v62, v152, v153, v62                            // 000000012914: D1D3003E 04FB3398
	v_max3_f32 v62, v154, v155, v62                            // 00000001291C: D1D3003E 04FB379A
	v_max3_f32 v62, v156, v157, v62                            // 000000012924: D1D3003E 04FB3B9C
	v_max3_f32 v62, v158, v159, v62                            // 00000001292C: D1D3003E 04FB3F9E
	ds_write_b32 v11, v62 offset:16896                         // 000000012934: D81A4200 00003E0B
	v_mul_f32_e32 v232, v64, v232                              // 00000001293C: 0BD1D140
	v_mul_f32_e32 v233, v64, v233                              // 000000012940: 0BD3D340
	v_mul_f32_e32 v234, v64, v234                              // 000000012944: 0BD5D540
	v_mul_f32_e32 v235, v64, v235                              // 000000012948: 0BD7D740
	v_mul_f32_e32 v236, v64, v236                              // 00000001294C: 0BD9D940
	v_mul_f32_e32 v237, v64, v237                              // 000000012950: 0BDBDB40
	v_mul_f32_e32 v238, v64, v238                              // 000000012954: 0BDDDD40
	v_mul_f32_e32 v239, v64, v239                              // 000000012958: 0BDFDF40
	s_waitcnt lgkmcnt(0)                                       // 00000001295C: BF8CC07F
	s_barrier                                                  // 000000012960: BF8A0000
	ds_read_b32 v80, v10 offset:16896                          // 000000012964: D86C4200 5000000A
	ds_read_b32 v81, v10 offset:16960                          // 00000001296C: D86C4240 5100000A
	ds_read_b32 v82, v10 offset:17024                          // 000000012974: D86C4280 5200000A
	ds_read_b32 v83, v10 offset:17088                          // 00000001297C: D86C42C0 5300000A
	ds_read_b32 v84, v10 offset:17152                          // 000000012984: D86C4300 5400000A
	ds_read_b32 v85, v10 offset:17216                          // 00000001298C: D86C4340 5500000A
	ds_read_b32 v86, v10 offset:17280                          // 000000012994: D86C4380 5600000A
	ds_read_b32 v87, v10 offset:17344                          // 00000001299C: D86C43C0 5700000A
	ds_read_b32 v88, v10 offset:17408                          // 0000000129A4: D86C4400 5800000A
	ds_read_b32 v89, v10 offset:17472                          // 0000000129AC: D86C4440 5900000A
	ds_read_b32 v90, v10 offset:17536                          // 0000000129B4: D86C4480 5A00000A
	ds_read_b32 v91, v10 offset:17600                          // 0000000129BC: D86C44C0 5B00000A
	ds_read_b32 v92, v10 offset:17664                          // 0000000129C4: D86C4500 5C00000A
	ds_read_b32 v93, v10 offset:17728                          // 0000000129CC: D86C4540 5D00000A
	ds_read_b32 v94, v10 offset:17792                          // 0000000129D4: D86C4580 5E00000A
	ds_read_b32 v95, v10 offset:17856                          // 0000000129DC: D86C45C0 5F00000A
	v_mul_f32_e32 v200, v59, v200                              // 0000000129E4: 0B91913B
	v_mul_f32_e32 v201, v59, v201                              // 0000000129E8: 0B93933B
	v_mul_f32_e32 v202, v59, v202                              // 0000000129EC: 0B95953B
	v_mul_f32_e32 v203, v59, v203                              // 0000000129F0: 0B97973B
	v_mul_f32_e32 v204, v59, v204                              // 0000000129F4: 0B99993B
	v_mul_f32_e32 v205, v59, v205                              // 0000000129F8: 0B9B9B3B
	v_mul_f32_e32 v206, v59, v206                              // 0000000129FC: 0B9D9D3B
	v_mul_f32_e32 v207, v59, v207                              // 000000012A00: 0B9F9F3B
	s_waitcnt lgkmcnt(0)                                       // 000000012A04: BF8CC07F
	v_max3_f32 v62, v80, v81, v62                              // 000000012A08: D1D3003E 04FAA350
	v_max3_f32 v62, v82, v83, v62                              // 000000012A10: D1D3003E 04FAA752
	v_max3_f32 v62, v84, v85, v62                              // 000000012A18: D1D3003E 04FAAB54
	v_max3_f32 v62, v86, v87, v62                              // 000000012A20: D1D3003E 04FAAF56
	v_max3_f32 v62, v88, v89, v62                              // 000000012A28: D1D3003E 04FAB358
	v_max3_f32 v62, v90, v91, v62                              // 000000012A30: D1D3003E 04FAB75A
	v_max3_f32 v62, v92, v93, v62                              // 000000012A38: D1D3003E 04FABB5C
	v_max3_f32 v62, v94, v95, v62                              // 000000012A40: D1D3003E 04FABF5E
	v_mov_b32_e32 v41, 0xff800000                              // 000000012A48: 7E5202FF FF800000
	v_cmp_eq_u32_e64 s[40:41], v41, v15                        // 000000012A50: D0CA0028 00021F29
	s_nop 1                                                    // 000000012A58: BF800001
	v_max_f32_e32 v18, v62, v15                                // 000000012A5C: 16241F3E
	v_mul_f32_e32 v67, s64, v18                                // 000000012A60: 0A862440
	v_fma_f32 v144, v144, s64, -v67                            // 000000012A64: D1CB0090 850C8190
	v_fma_f32 v145, v145, s64, -v67                            // 000000012A6C: D1CB0091 850C8191
	v_fma_f32 v146, v146, s64, -v67                            // 000000012A74: D1CB0092 850C8192
	v_fma_f32 v147, v147, s64, -v67                            // 000000012A7C: D1CB0093 850C8193
	v_fma_f32 v148, v148, s64, -v67                            // 000000012A84: D1CB0094 850C8194
	v_fma_f32 v149, v149, s64, -v67                            // 000000012A8C: D1CB0095 850C8195
	v_fma_f32 v150, v150, s64, -v67                            // 000000012A94: D1CB0096 850C8196
	v_fma_f32 v151, v151, s64, -v67                            // 000000012A9C: D1CB0097 850C8197
	v_fma_f32 v152, v152, s64, -v67                            // 000000012AA4: D1CB0098 850C8198
	v_fma_f32 v153, v153, s64, -v67                            // 000000012AAC: D1CB0099 850C8199
	v_fma_f32 v154, v154, s64, -v67                            // 000000012AB4: D1CB009A 850C819A
	v_fma_f32 v155, v155, s64, -v67                            // 000000012ABC: D1CB009B 850C819B
	v_fma_f32 v156, v156, s64, -v67                            // 000000012AC4: D1CB009C 850C819C
	v_fma_f32 v157, v157, s64, -v67                            // 000000012ACC: D1CB009D 850C819D
	v_fma_f32 v158, v158, s64, -v67                            // 000000012AD4: D1CB009E 850C819E
	v_fma_f32 v159, v159, s64, -v67                            // 000000012ADC: D1CB009F 850C819F
	v_exp_f32_e32 v144, v144                                   // 000000012AE4: 7F204190
	v_exp_f32_e32 v145, v145                                   // 000000012AE8: 7F224191
	v_exp_f32_e32 v146, v146                                   // 000000012AEC: 7F244192
	v_exp_f32_e32 v147, v147                                   // 000000012AF0: 7F264193
	v_exp_f32_e32 v148, v148                                   // 000000012AF4: 7F284194
	v_exp_f32_e32 v149, v149                                   // 000000012AF8: 7F2A4195
	v_exp_f32_e32 v150, v150                                   // 000000012AFC: 7F2C4196
	v_exp_f32_e32 v151, v151                                   // 000000012B00: 7F2E4197
	v_exp_f32_e32 v152, v152                                   // 000000012B04: 7F304198
	v_exp_f32_e32 v153, v153                                   // 000000012B08: 7F324199
	v_exp_f32_e32 v154, v154                                   // 000000012B0C: 7F34419A
	v_exp_f32_e32 v155, v155                                   // 000000012B10: 7F36419B
	v_exp_f32_e32 v156, v156                                   // 000000012B14: 7F38419C
	v_exp_f32_e32 v157, v157                                   // 000000012B18: 7F3A419D
	v_exp_f32_e32 v158, v158                                   // 000000012B1C: 7F3C419E
	v_exp_f32_e32 v159, v159                                   // 000000012B20: 7F3E419F
	v_mul_f32_dpp v240, v252, v144 quad_perm:[0,0,0,0] row_mask:0xf bank_mask:0xf// 000000012B24: 0BE120FA FF0000FC
	v_mul_f32_dpp v241, v252, v145 quad_perm:[1,1,1,1] row_mask:0xf bank_mask:0xf// 000000012B2C: 0BE322FA FF0055FC
	v_mul_f32_dpp v242, v252, v146 quad_perm:[2,2,2,2] row_mask:0xf bank_mask:0xf// 000000012B34: 0BE524FA FF00AAFC
	v_mul_f32_dpp v243, v252, v147 quad_perm:[3,3,3,3] row_mask:0xf bank_mask:0xf// 000000012B3C: 0BE726FA FF00FFFC
	v_mul_f32_dpp v244, v253, v148 quad_perm:[0,0,0,0] row_mask:0xf bank_mask:0xf// 000000012B44: 0BE928FA FF0000FD
	v_mul_f32_dpp v245, v253, v149 quad_perm:[1,1,1,1] row_mask:0xf bank_mask:0xf// 000000012B4C: 0BEB2AFA FF0055FD
	v_mul_f32_dpp v246, v253, v150 quad_perm:[2,2,2,2] row_mask:0xf bank_mask:0xf// 000000012B54: 0BED2CFA FF00AAFD
	v_mul_f32_dpp v247, v253, v151 quad_perm:[3,3,3,3] row_mask:0xf bank_mask:0xf// 000000012B5C: 0BEF2EFA FF00FFFD
	v_mul_f32_dpp v248, v254, v152 quad_perm:[0,0,0,0] row_mask:0xf bank_mask:0xf// 000000012B64: 0BF130FA FF0000FE
	v_mul_f32_dpp v249, v254, v153 quad_perm:[1,1,1,1] row_mask:0xf bank_mask:0xf// 000000012B6C: 0BF332FA FF0055FE
	v_mul_f32_dpp v250, v254, v154 quad_perm:[2,2,2,2] row_mask:0xf bank_mask:0xf// 000000012B74: 0BF534FA FF00AAFE
	v_mul_f32_dpp v251, v254, v155 quad_perm:[3,3,3,3] row_mask:0xf bank_mask:0xf// 000000012B7C: 0BF736FA FF00FFFE
	v_mul_f32_dpp v252, v255, v156 quad_perm:[0,0,0,0] row_mask:0xf bank_mask:0xf// 000000012B84: 0BF938FA FF0000FF
	v_mul_f32_dpp v253, v255, v157 quad_perm:[1,1,1,1] row_mask:0xf bank_mask:0xf// 000000012B8C: 0BFB3AFA FF0055FF
	v_mul_f32_dpp v254, v255, v158 quad_perm:[2,2,2,2] row_mask:0xf bank_mask:0xf// 000000012B94: 0BFD3CFA FF00AAFF
	v_mul_f32_dpp v255, v255, v159 quad_perm:[3,3,3,3] row_mask:0xf bank_mask:0xf// 000000012B9C: 0BFF3EFA FF00FFFF
	v_mov_b32_e32 v62, 0x358637bd                              // 000000012BA4: 7E7C02FF 358637BD
	v_max3_f32 v62, |v240|, |v241|, v62                        // 000000012BAC: D1D3033E 04FBE3F0
	v_max3_f32 v62, |v242|, |v243|, v62                        // 000000012BB4: D1D3033E 04FBE7F2
	v_max3_f32 v62, |v244|, |v245|, v62                        // 000000012BBC: D1D3033E 04FBEBF4
	v_max3_f32 v62, |v246|, |v247|, v62                        // 000000012BC4: D1D3033E 04FBEFF6
	v_max3_f32 v62, |v248|, |v249|, v62                        // 000000012BCC: D1D3033E 04FBF3F8
	v_max3_f32 v62, |v250|, |v251|, v62                        // 000000012BD4: D1D3033E 04FBF7FA
	v_max3_f32 v62, |v252|, |v253|, v62                        // 000000012BDC: D1D3033E 04FBFBFC
	v_max3_f32 v62, |v254|, |v255|, v62                        // 000000012BE4: D1D3033E 04FBFFFE
	ds_write_b32 v11, v62 offset:20992                         // 000000012BEC: D81A5200 00003E0B
	v_sub_f32_e32 v64, v15, v18                                // 000000012BF4: 0480250F
	v_cndmask_b32_e64 v64, v64, 0, s[40:41]                    // 000000012BF8: D1000040 00A10140
	v_mov_b32_e32 v15, v18                                     // 000000012C00: 7E1E0312
	v_mul_f32_e32 v64, s64, v64                                // 000000012C04: 0A808040
	v_exp_f32_e32 v64, v64                                     // 000000012C08: 7E804140
	s_waitcnt lgkmcnt(0)                                       // 000000012C0C: BF8CC07F
	s_barrier                                                  // 000000012C10: BF8A0000
	ds_read_b32 v80, v10 offset:20992                          // 000000012C14: D86C5200 5000000A
	ds_read_b32 v81, v10 offset:21056                          // 000000012C1C: D86C5240 5100000A
	ds_read_b32 v82, v10 offset:21120                          // 000000012C24: D86C5280 5200000A
	ds_read_b32 v83, v10 offset:21184                          // 000000012C2C: D86C52C0 5300000A
	ds_read_b32 v84, v10 offset:21248                          // 000000012C34: D86C5300 5400000A
	ds_read_b32 v85, v10 offset:21312                          // 000000012C3C: D86C5340 5500000A
	ds_read_b32 v86, v10 offset:21376                          // 000000012C44: D86C5380 5600000A
	ds_read_b32 v87, v10 offset:21440                          // 000000012C4C: D86C53C0 5700000A
	ds_read_b32 v88, v10 offset:21504                          // 000000012C54: D86C5400 5800000A
	ds_read_b32 v89, v10 offset:21568                          // 000000012C5C: D86C5440 5900000A
	ds_read_b32 v90, v10 offset:21632                          // 000000012C64: D86C5480 5A00000A
	ds_read_b32 v91, v10 offset:21696                          // 000000012C6C: D86C54C0 5B00000A
	ds_read_b32 v92, v10 offset:21760                          // 000000012C74: D86C5500 5C00000A
	ds_read_b32 v93, v10 offset:21824                          // 000000012C7C: D86C5540 5D00000A
	ds_read_b32 v94, v10 offset:21888                          // 000000012C84: D86C5580 5E00000A
	ds_read_b32 v95, v10 offset:21952                          // 000000012C8C: D86C55C0 5F00000A
	v_mul_f32_e32 v48, v64, v48                                // 000000012C94: 0A606140
	v_mov_b32_e32 v18, v144                                    // 000000012C98: 7E240390
	v_add_f32_e32 v18, v145, v18                               // 000000012C9C: 02242591
	v_add_f32_e32 v18, v146, v18                               // 000000012CA0: 02242592
	v_add_f32_e32 v18, v147, v18                               // 000000012CA4: 02242593
	v_add_f32_e32 v18, v148, v18                               // 000000012CA8: 02242594
	v_add_f32_e32 v18, v149, v18                               // 000000012CAC: 02242595
	v_add_f32_e32 v18, v150, v18                               // 000000012CB0: 02242596
	v_add_f32_e32 v18, v151, v18                               // 000000012CB4: 02242597
	v_add_f32_e32 v18, v152, v18                               // 000000012CB8: 02242598
	v_add_f32_e32 v18, v153, v18                               // 000000012CBC: 02242599
	v_add_f32_e32 v18, v154, v18                               // 000000012CC0: 0224259A
	v_add_f32_e32 v18, v155, v18                               // 000000012CC4: 0224259B
	v_add_f32_e32 v18, v156, v18                               // 000000012CC8: 0224259C
	v_add_f32_e32 v18, v157, v18                               // 000000012CCC: 0224259D
	v_add_f32_e32 v18, v158, v18                               // 000000012CD0: 0224259E
	v_add_f32_e32 v18, v159, v18                               // 000000012CD4: 0224259F
	v_add_f32_e32 v48, v18, v48                                // 000000012CD8: 02606112
	s_waitcnt lgkmcnt(0)                                       // 000000012CDC: BF8CC07F
	v_max3_f32 v62, |v80|, |v81|, v62                          // 000000012CE0: D1D3033E 04FAA350
	v_max3_f32 v62, |v82|, |v83|, v62                          // 000000012CE8: D1D3033E 04FAA752
	v_max3_f32 v62, |v84|, |v85|, v62                          // 000000012CF0: D1D3033E 04FAAB54
	v_max3_f32 v62, |v86|, |v87|, v62                          // 000000012CF8: D1D3033E 04FAAF56
	v_max3_f32 v62, |v88|, |v89|, v62                          // 000000012D00: D1D3033E 04FAB358
	v_max3_f32 v62, |v90|, |v91|, v62                          // 000000012D08: D1D3033E 04FAB75A
	v_max3_f32 v62, |v92|, |v93|, v62                          // 000000012D10: D1D3033E 04FABB5C
	v_max3_f32 v62, |v94|, |v95|, v62                          // 000000012D18: D1D3033E 04FABF5E
	s_nop 2                                                    // 000000012D20: BF800002
	v_rcp_f32_e32 v62, v62                                     // 000000012D24: 7E7C453E
	s_nop 1                                                    // 000000012D28: BF800001
	v_mul_f32_e32 v62, 0x43e00000, v62                         // 000000012D2C: 0A7C7CFF 43E00000
	v_mul_f32_e32 v144, v62, v240                              // 000000012D34: 0B21E13E
	v_mul_f32_e32 v145, v62, v241                              // 000000012D38: 0B23E33E
	v_mul_f32_e32 v146, v62, v242                              // 000000012D3C: 0B25E53E
	v_mul_f32_e32 v147, v62, v243                              // 000000012D40: 0B27E73E
	v_mul_f32_e32 v148, v62, v244                              // 000000012D44: 0B29E93E
	v_mul_f32_e32 v149, v62, v245                              // 000000012D48: 0B2BEB3E
	v_mul_f32_e32 v150, v62, v246                              // 000000012D4C: 0B2DED3E
	v_mul_f32_e32 v151, v62, v247                              // 000000012D50: 0B2FEF3E
	v_mul_f32_e32 v152, v62, v248                              // 000000012D54: 0B31F13E
	v_mul_f32_e32 v153, v62, v249                              // 000000012D58: 0B33F33E
	v_mul_f32_e32 v154, v62, v250                              // 000000012D5C: 0B35F53E
	v_mul_f32_e32 v155, v62, v251                              // 000000012D60: 0B37F73E
	v_mul_f32_e32 v156, v62, v252                              // 000000012D64: 0B39F93E
	v_mul_f32_e32 v157, v62, v253                              // 000000012D68: 0B3BFB3E
	v_mul_f32_e32 v158, v62, v254                              // 000000012D6C: 0B3DFD3E
	v_mul_f32_e32 v159, v62, v255                              // 000000012D70: 0B3FFF3E
	v_cvt_pk_fp8_f32 v144, v144, v145                          // 000000012D74: D2A20090 00032390
	v_cvt_pk_fp8_f32 v144, v146, v147 op_sel:[0,0,1]           // 000000012D7C: D2A24090 00032792
	v_cvt_pk_fp8_f32 v145, v148, v149                          // 000000012D84: D2A20091 00032B94
	v_cvt_pk_fp8_f32 v145, v150, v151 op_sel:[0,0,1]           // 000000012D8C: D2A24091 00032F96
	v_cvt_pk_fp8_f32 v146, v152, v153                          // 000000012D94: D2A20092 00033398
	v_cvt_pk_fp8_f32 v146, v154, v155 op_sel:[0,0,1]           // 000000012D9C: D2A24092 0003379A
	v_cvt_pk_fp8_f32 v147, v156, v157                          // 000000012DA4: D2A20093 00033B9C
	v_cvt_pk_fp8_f32 v147, v158, v159 op_sel:[0,0,1]           // 000000012DAC: D2A24093 00033F9E
	ds_write_b32 v13, v144 offset:29184                        // 000000012DB4: D81A7200 0000900D
	ds_write_b32 v13, v145 offset:30208                        // 000000012DBC: D81A7600 0000910D
	ds_write_b32 v13, v146 offset:31232                        // 000000012DC4: D81A7A00 0000920D
	ds_write_b32 v13, v147 offset:32256                        // 000000012DCC: D81A7E00 0000930D
	v_add_f32_e32 v232, v232, v200                             // 000000012DD4: 03D191E8
	v_add_f32_e32 v233, v233, v201                             // 000000012DD8: 03D393E9
	v_add_f32_e32 v234, v234, v202                             // 000000012DDC: 03D595EA
	v_add_f32_e32 v235, v235, v203                             // 000000012DE0: 03D797EB
	v_add_f32_e32 v236, v236, v204                             // 000000012DE4: 03D999EC
	v_add_f32_e32 v237, v237, v205                             // 000000012DE8: 03DB9BED
	v_add_f32_e32 v238, v238, v206                             // 000000012DEC: 03DD9DEE
	v_add_f32_e32 v239, v239, v207                             // 000000012DF0: 03DF9FEF
	v_rcp_f32_e32 v59, v62                                     // 000000012DF4: 7E76453E
	s_waitcnt lgkmcnt(0)                                       // 000000012DF8: BF8CC07F
	s_barrier                                                  // 000000012DFC: BF8A0000
	ds_read_b64 v[144:145], v12 offset:29184                   // 000000012E00: D8EC7200 9000000C
	ds_read_b64 v[146:147], v12 offset:29312                   // 000000012E08: D8EC7280 9200000C
	ds_read_b64 v[148:149], v12 offset:30208                   // 000000012E10: D8EC7600 9400000C
	ds_read_b64 v[150:151], v12 offset:30336                   // 000000012E18: D8EC7680 9600000C
	ds_read_b64 v[152:153], v12 offset:31232                   // 000000012E20: D8EC7A00 9800000C
	ds_read_b64 v[154:155], v12 offset:31360                   // 000000012E28: D8EC7A80 9A00000C
	ds_read_b64 v[156:157], v12 offset:32256                   // 000000012E30: D8EC7E00 9C00000C
	ds_read_b64 v[158:159], v12 offset:32384                   // 000000012E38: D8EC7E80 9E00000C
	s_waitcnt vmcnt(0)                                         // 000000012E40: BF8C0F70
	s_barrier                                                  // 000000012E44: BF8A0000
	v_mfma_f32_16x16x32_fp8_fp8 v[192:195], a[96:97], v[128:129], 0// 000000012E48: D3F300C0 0A030160
	v_mfma_f32_16x16x32_fp8_fp8 v[192:195], a[98:99], v[130:131], v[192:195]// 000000012E50: D3F300C0 0F030562
	v_mfma_f32_16x16x32_fp8_fp8 v[192:195], a[100:101], v[132:133], v[192:195]// 000000012E58: D3F300C0 0F030964
	v_mfma_f32_16x16x32_fp8_fp8 v[192:195], a[102:103], v[134:135], v[192:195]// 000000012E60: D3F300C0 0F030D66
	v_mfma_f32_16x16x32_fp8_fp8 v[192:195], a[104:105], v[136:137], v[192:195]// 000000012E68: D3F300C0 0F031168
	v_mfma_f32_16x16x32_fp8_fp8 v[192:195], a[106:107], v[138:139], v[192:195]// 000000012E70: D3F300C0 0F03156A
	v_mfma_f32_16x16x32_fp8_fp8 v[192:195], a[108:109], v[140:141], v[192:195]// 000000012E78: D3F300C0 0F03196C
	v_mfma_f32_16x16x32_fp8_fp8 v[192:195], a[110:111], v[142:143], v[192:195]// 000000012E80: D3F300C0 0F031D6E
	v_mfma_f32_16x16x32_fp8_fp8 v[196:199], a[112:113], v[128:129], 0// 000000012E88: D3F300C4 0A030170
	v_mfma_f32_16x16x32_fp8_fp8 v[196:199], a[114:115], v[130:131], v[196:199]// 000000012E90: D3F300C4 0F130572
	v_mfma_f32_16x16x32_fp8_fp8 v[196:199], a[116:117], v[132:133], v[196:199]// 000000012E98: D3F300C4 0F130974
	v_mfma_f32_16x16x32_fp8_fp8 v[196:199], a[118:119], v[134:135], v[196:199]// 000000012EA0: D3F300C4 0F130D76
	v_mfma_f32_16x16x32_fp8_fp8 v[196:199], a[120:121], v[136:137], v[196:199]// 000000012EA8: D3F300C4 0F131178
	v_mfma_f32_16x16x32_fp8_fp8 v[196:199], a[122:123], v[138:139], v[196:199]// 000000012EB0: D3F300C4 0F13157A
	v_mfma_f32_16x16x32_fp8_fp8 v[196:199], a[124:125], v[140:141], v[196:199]// 000000012EB8: D3F300C4 0F13197C
	v_mfma_f32_16x16x32_fp8_fp8 v[196:199], a[126:127], v[142:143], v[196:199]// 000000012EC0: D3F300C4 0F131D7E
	v_mfma_f32_16x16x32_fp8_fp8 v[200:203], a[96:97], v[144:145], 0// 000000012EC8: D3F300C8 0A032160
	v_mfma_f32_16x16x32_fp8_fp8 v[200:203], a[98:99], v[146:147], v[200:203]// 000000012ED0: D3F300C8 0F232562
	v_mfma_f32_16x16x32_fp8_fp8 v[200:203], a[100:101], v[148:149], v[200:203]// 000000012ED8: D3F300C8 0F232964
	v_mfma_f32_16x16x32_fp8_fp8 v[200:203], a[102:103], v[150:151], v[200:203]// 000000012EE0: D3F300C8 0F232D66
	v_mfma_f32_16x16x32_fp8_fp8 v[200:203], a[104:105], v[152:153], v[200:203]// 000000012EE8: D3F300C8 0F233168
	v_mfma_f32_16x16x32_fp8_fp8 v[200:203], a[106:107], v[154:155], v[200:203]// 000000012EF0: D3F300C8 0F23356A
	v_mfma_f32_16x16x32_fp8_fp8 v[200:203], a[108:109], v[156:157], v[200:203]// 000000012EF8: D3F300C8 0F23396C
	v_mfma_f32_16x16x32_fp8_fp8 v[200:203], a[110:111], v[158:159], v[200:203]// 000000012F00: D3F300C8 0F233D6E
	v_mfma_f32_16x16x32_fp8_fp8 v[204:207], a[112:113], v[144:145], 0// 000000012F08: D3F300CC 0A032170
	v_mfma_f32_16x16x32_fp8_fp8 v[204:207], a[114:115], v[146:147], v[204:207]// 000000012F10: D3F300CC 0F332572
	v_mfma_f32_16x16x32_fp8_fp8 v[204:207], a[116:117], v[148:149], v[204:207]// 000000012F18: D3F300CC 0F332974
	v_mfma_f32_16x16x32_fp8_fp8 v[204:207], a[118:119], v[150:151], v[204:207]// 000000012F20: D3F300CC 0F332D76
	v_mfma_f32_16x16x32_fp8_fp8 v[204:207], a[120:121], v[152:153], v[204:207]// 000000012F28: D3F300CC 0F333178
	v_mfma_f32_16x16x32_fp8_fp8 v[204:207], a[122:123], v[154:155], v[204:207]// 000000012F30: D3F300CC 0F33357A
	v_mfma_f32_16x16x32_fp8_fp8 v[204:207], a[124:125], v[156:157], v[204:207]// 000000012F38: D3F300CC 0F33397C
	v_mfma_f32_16x16x32_fp8_fp8 v[204:207], a[126:127], v[158:159], v[204:207]// 000000012F40: D3F300CC 0F333D7E
	s_nop 4                                                    // 000000012F48: BF800004
	s_branch label_4354                                        // 000000012F4C: BF820000

0000000000012f50 <label_4354>:
	s_mov_b32 s60, 0xa0                                        // 000000012F50: BEBC00FF 000000A0
	s_cmp_eq_i32 s88, s60                                      // 000000012F58: BF003C58
	s_cbranch_scc1 label_4485                                  // 000000012F5C: BF85012D
	v_mul_f32_e32 v224, v63, v224                              // 000000012F60: 0BC1C13F
	v_mul_f32_e32 v225, v63, v225                              // 000000012F64: 0BC3C33F
	v_mul_f32_e32 v226, v63, v226                              // 000000012F68: 0BC5C53F
	v_mul_f32_e32 v227, v63, v227                              // 000000012F6C: 0BC7C73F
	v_mul_f32_e32 v228, v63, v228                              // 000000012F70: 0BC9C93F
	v_mul_f32_e32 v229, v63, v229                              // 000000012F74: 0BCBCB3F
	v_mul_f32_e32 v230, v63, v230                              // 000000012F78: 0BCDCD3F
	v_mul_f32_e32 v231, v63, v231                              // 000000012F7C: 0BCFCF3F
	v_mul_f32_e32 v192, v58, v192                              // 000000012F80: 0B81813A
	v_mul_f32_e32 v193, v58, v193                              // 000000012F84: 0B83833A
	v_mul_f32_e32 v194, v58, v194                              // 000000012F88: 0B85853A
	v_mul_f32_e32 v195, v58, v195                              // 000000012F8C: 0B87873A
	v_mul_f32_e32 v196, v58, v196                              // 000000012F90: 0B89893A
	v_mul_f32_e32 v197, v58, v197                              // 000000012F94: 0B8B8B3A
	v_mul_f32_e32 v198, v58, v198                              // 000000012F98: 0B8D8D3A
	v_mul_f32_e32 v199, v58, v199                              // 000000012F9C: 0B8F8F3A
	v_add_f32_e32 v224, v224, v192                             // 000000012FA0: 03C181E0
	v_add_f32_e32 v225, v225, v193                             // 000000012FA4: 03C383E1
	v_add_f32_e32 v226, v226, v194                             // 000000012FA8: 03C585E2
	v_add_f32_e32 v227, v227, v195                             // 000000012FAC: 03C787E3
	v_add_f32_e32 v228, v228, v196                             // 000000012FB0: 03C989E4
	v_add_f32_e32 v229, v229, v197                             // 000000012FB4: 03CB8BE5
	v_add_f32_e32 v230, v230, v198                             // 000000012FB8: 03CD8DE6
	v_add_f32_e32 v231, v231, v199                             // 000000012FBC: 03CF8FE7
	ds_write_b32 v11, v47 offset:16896                         // 000000012FC0: D81A4200 00002F0B
	s_waitcnt lgkmcnt(0)                                       // 000000012FC8: BF8CC07F
	s_barrier                                                  // 000000012FCC: BF8A0000
	ds_read_b32 v80, v10 offset:16896                          // 000000012FD0: D86C4200 5000000A
	ds_read_b32 v81, v10 offset:16960                          // 000000012FD8: D86C4240 5100000A
	ds_read_b32 v82, v10 offset:17024                          // 000000012FE0: D86C4280 5200000A
	ds_read_b32 v83, v10 offset:17088                          // 000000012FE8: D86C42C0 5300000A
	ds_read_b32 v84, v10 offset:17152                          // 000000012FF0: D86C4300 5400000A
	ds_read_b32 v85, v10 offset:17216                          // 000000012FF8: D86C4340 5500000A
	ds_read_b32 v86, v10 offset:17280                          // 000000013000: D86C4380 5600000A
	ds_read_b32 v87, v10 offset:17344                          // 000000013008: D86C43C0 5700000A
	ds_read_b32 v88, v10 offset:17408                          // 000000013010: D86C4400 5800000A
	ds_read_b32 v89, v10 offset:17472                          // 000000013018: D86C4440 5900000A
	ds_read_b32 v90, v10 offset:17536                          // 000000013020: D86C4480 5A00000A
	ds_read_b32 v91, v10 offset:17600                          // 000000013028: D86C44C0 5B00000A
	ds_read_b32 v92, v10 offset:17664                          // 000000013030: D86C4500 5C00000A
	ds_read_b32 v93, v10 offset:17728                          // 000000013038: D86C4540 5D00000A
	ds_read_b32 v94, v10 offset:17792                          // 000000013040: D86C4580 5E00000A
	ds_read_b32 v95, v10 offset:17856                          // 000000013048: D86C45C0 5F00000A
	s_waitcnt lgkmcnt(0)                                       // 000000013050: BF8CC07F
	v_mov_b32_e32 v47, 0                                       // 000000013054: 7E5E0280
	v_add_f32_e32 v47, v80, v47                                // 000000013058: 025E5F50
	v_add_f32_e32 v47, v81, v47                                // 00000001305C: 025E5F51
	v_add_f32_e32 v47, v82, v47                                // 000000013060: 025E5F52
	v_add_f32_e32 v47, v83, v47                                // 000000013064: 025E5F53
	v_add_f32_e32 v47, v84, v47                                // 000000013068: 025E5F54
	v_add_f32_e32 v47, v85, v47                                // 00000001306C: 025E5F55
	v_add_f32_e32 v47, v86, v47                                // 000000013070: 025E5F56
	v_add_f32_e32 v47, v87, v47                                // 000000013074: 025E5F57
	v_add_f32_e32 v47, v88, v47                                // 000000013078: 025E5F58
	v_add_f32_e32 v47, v89, v47                                // 00000001307C: 025E5F59
	v_add_f32_e32 v47, v90, v47                                // 000000013080: 025E5F5A
	v_add_f32_e32 v47, v91, v47                                // 000000013084: 025E5F5B
	v_add_f32_e32 v47, v92, v47                                // 000000013088: 025E5F5C
	v_add_f32_e32 v47, v93, v47                                // 00000001308C: 025E5F5D
	v_add_f32_e32 v47, v94, v47                                // 000000013090: 025E5F5E
	v_add_f32_e32 v47, v95, v47                                // 000000013094: 025E5F5F
	s_nop 1                                                    // 000000013098: BF800001
	v_rcp_f32_e32 v47, v47                                     // 00000001309C: 7E5E452F
	s_nop 1                                                    // 0000000130A0: BF800001
	v_mul_f32_e32 v224, v47, v224                              // 0000000130A4: 0BC1C12F
	v_mul_f32_e32 v225, v47, v225                              // 0000000130A8: 0BC3C32F
	v_mul_f32_e32 v226, v47, v226                              // 0000000130AC: 0BC5C52F
	v_mul_f32_e32 v227, v47, v227                              // 0000000130B0: 0BC7C72F
	v_mul_f32_e32 v228, v47, v228                              // 0000000130B4: 0BC9C92F
	v_mul_f32_e32 v229, v47, v229                              // 0000000130B8: 0BCBCB2F
	v_mul_f32_e32 v230, v47, v230                              // 0000000130BC: 0BCDCD2F
	v_mul_f32_e32 v231, v47, v231                              // 0000000130C0: 0BCFCF2F
	v_cvt_pkrtz_f16_f32 v41, v224, v225                        // 0000000130C4: D2960029 0003C3E0
	v_mov_b32_e32 v224, v41                                    // 0000000130CC: 7FC00329
	v_cvt_pkrtz_f16_f32 v41, v226, v227                        // 0000000130D0: D2960029 0003C7E2
	v_mov_b32_e32 v225, v41                                    // 0000000130D8: 7FC20329
	v_cvt_pkrtz_f16_f32 v41, v228, v229                        // 0000000130DC: D2960029 0003CBE4
	v_mov_b32_e32 v226, v41                                    // 0000000130E4: 7FC40329
	v_cvt_pkrtz_f16_f32 v41, v230, v231                        // 0000000130E8: D2960029 0003CFE6
	v_mov_b32_e32 v227, v41                                    // 0000000130F0: 7FC60329
	s_nop 1                                                    // 0000000130F4: BF800001
	v_lshrrev_b32_e32 v41, 4, v0                               // 0000000130F8: 20520084
	v_mul_i32_i24_e32 v45, 34, v41                             // 0000000130FC: 0C5A52A2
	v_and_b32_e32 v41, 15, v0                                  // 000000013100: 2652008F
	v_mul_i32_i24_e32 v42, 2, v41                              // 000000013104: 0C545282
	v_add_u32_e32 v45, v42, v45                                // 000000013108: 685A5B2A
	s_mul_i32 s60, s7, 0x88                                    // 00000001310C: 923CFF07 00000088
	v_add_u32_e32 v45, s60, v45                                // 000000013114: 685A5A3C
	v_lshlrev_b32_e32 v45, 2, v45                              // 000000013118: 245A5A82
	ds_write_b64 v45, v[224:225] offset:41472                  // 00000001311C: D89AA200 0000E02D
	ds_write_b64 v45, v[226:227] offset:43648                  // 000000013124: D89AAA80 0000E22D
	v_lshrrev_b32_e32 v41, 1, v0                               // 00000001312C: 20520081
	v_mul_i32_i24_e32 v45, 34, v41                             // 000000013130: 0C5A52A2
	v_and_b32_e32 v42, 1, v0                                   // 000000013134: 26540081
	v_add_u32_e32 v45, v42, v45                                // 000000013138: 685A5B2A
	s_mul_i32 s60, s7, 2                                       // 00000001313C: 923C8207
	v_add_u32_e32 v45, s60, v45                                // 000000013140: 685A5A3C
	v_lshlrev_b32_e32 v45, 2, v45                              // 000000013144: 245A5A82
	s_waitcnt lgkmcnt(0)                                       // 000000013148: BF8CC07F
	s_barrier                                                  // 00000001314C: BF8A0000
	ds_read_b32 v224, v45 offset:41472                         // 000000013150: D86CA200 E000002D
	ds_read_b32 v225, v45 offset:41504                         // 000000013158: D86CA220 E100002D
	ds_read_b32 v226, v45 offset:41536                         // 000000013160: D86CA240 E200002D
	ds_read_b32 v227, v45 offset:41568                         // 000000013168: D86CA260 E300002D
	s_mul_i32 s60, s7, 0x100                                   // 000000013170: 923CFF07 00000100
	v_lshlrev_b32_e32 v41, 2, v0                               // 000000013178: 24520082
	v_add_u32_e64 v41, v41, s60                                // 00000001317C: D1340029 00007929
	s_waitcnt lgkmcnt(0)                                       // 000000013184: BF8CC07F
	buffer_store_dword v224, v41, s[8:11], 0 offen             // 000000013188: E0701000 8002E029
	buffer_store_dword v225, v41, s[8:11], 0 offen offset:1024 // 000000013190: E0701400 8002E129
	s_add_u32 s8, s75, s8                                      // 000000013198: 8008084B
	s_addc_u32 s9, 0, s9                                       // 00000001319C: 82090980
	buffer_store_dword v226, v41, s[8:11], 0 offen             // 0000000131A0: E0701000 8002E229
	buffer_store_dword v227, v41, s[8:11], 0 offen offset:1024 // 0000000131A8: E0701400 8002E329
	s_add_u32 s8, s75, s8                                      // 0000000131B0: 8008084B
	s_addc_u32 s9, 0, s9                                       // 0000000131B4: 82090980
	v_mul_f32_e32 v232, v64, v232                              // 0000000131B8: 0BD1D140
	v_mul_f32_e32 v233, v64, v233                              // 0000000131BC: 0BD3D340
	v_mul_f32_e32 v234, v64, v234                              // 0000000131C0: 0BD5D540
	v_mul_f32_e32 v235, v64, v235                              // 0000000131C4: 0BD7D740
	v_mul_f32_e32 v236, v64, v236                              // 0000000131C8: 0BD9D940
	v_mul_f32_e32 v237, v64, v237                              // 0000000131CC: 0BDBDB40
	v_mul_f32_e32 v238, v64, v238                              // 0000000131D0: 0BDDDD40
	v_mul_f32_e32 v239, v64, v239                              // 0000000131D4: 0BDFDF40
	v_mul_f32_e32 v200, v59, v200                              // 0000000131D8: 0B91913B
	v_mul_f32_e32 v201, v59, v201                              // 0000000131DC: 0B93933B
	v_mul_f32_e32 v202, v59, v202                              // 0000000131E0: 0B95953B
	v_mul_f32_e32 v203, v59, v203                              // 0000000131E4: 0B97973B
	v_mul_f32_e32 v204, v59, v204                              // 0000000131E8: 0B99993B
	v_mul_f32_e32 v205, v59, v205                              // 0000000131EC: 0B9B9B3B
	v_mul_f32_e32 v206, v59, v206                              // 0000000131F0: 0B9D9D3B
	v_mul_f32_e32 v207, v59, v207                              // 0000000131F4: 0B9F9F3B
	v_add_f32_e32 v232, v232, v200                             // 0000000131F8: 03D191E8
	v_add_f32_e32 v233, v233, v201                             // 0000000131FC: 03D393E9
	v_add_f32_e32 v234, v234, v202                             // 000000013200: 03D595EA
	v_add_f32_e32 v235, v235, v203                             // 000000013204: 03D797EB
	v_add_f32_e32 v236, v236, v204                             // 000000013208: 03D999EC
	v_add_f32_e32 v237, v237, v205                             // 00000001320C: 03DB9BED
	v_add_f32_e32 v238, v238, v206                             // 000000013210: 03DD9DEE
	v_add_f32_e32 v239, v239, v207                             // 000000013214: 03DF9FEF
	ds_write_b32 v11, v48 offset:16896                         // 000000013218: D81A4200 0000300B
	s_waitcnt lgkmcnt(0)                                       // 000000013220: BF8CC07F
	s_barrier                                                  // 000000013224: BF8A0000
	ds_read_b32 v80, v10 offset:16896                          // 000000013228: D86C4200 5000000A
	ds_read_b32 v81, v10 offset:16960                          // 000000013230: D86C4240 5100000A
	ds_read_b32 v82, v10 offset:17024                          // 000000013238: D86C4280 5200000A
	ds_read_b32 v83, v10 offset:17088                          // 000000013240: D86C42C0 5300000A
	ds_read_b32 v84, v10 offset:17152                          // 000000013248: D86C4300 5400000A
	ds_read_b32 v85, v10 offset:17216                          // 000000013250: D86C4340 5500000A
	ds_read_b32 v86, v10 offset:17280                          // 000000013258: D86C4380 5600000A
	ds_read_b32 v87, v10 offset:17344                          // 000000013260: D86C43C0 5700000A
	ds_read_b32 v88, v10 offset:17408                          // 000000013268: D86C4400 5800000A
	ds_read_b32 v89, v10 offset:17472                          // 000000013270: D86C4440 5900000A
	ds_read_b32 v90, v10 offset:17536                          // 000000013278: D86C4480 5A00000A
	ds_read_b32 v91, v10 offset:17600                          // 000000013280: D86C44C0 5B00000A
	ds_read_b32 v92, v10 offset:17664                          // 000000013288: D86C4500 5C00000A
	ds_read_b32 v93, v10 offset:17728                          // 000000013290: D86C4540 5D00000A
	ds_read_b32 v94, v10 offset:17792                          // 000000013298: D86C4580 5E00000A
	ds_read_b32 v95, v10 offset:17856                          // 0000000132A0: D86C45C0 5F00000A
	s_waitcnt lgkmcnt(0)                                       // 0000000132A8: BF8CC07F
	v_mov_b32_e32 v48, 0                                       // 0000000132AC: 7E600280
	v_add_f32_e32 v48, v80, v48                                // 0000000132B0: 02606150
	v_add_f32_e32 v48, v81, v48                                // 0000000132B4: 02606151
	v_add_f32_e32 v48, v82, v48                                // 0000000132B8: 02606152
	v_add_f32_e32 v48, v83, v48                                // 0000000132BC: 02606153
	v_add_f32_e32 v48, v84, v48                                // 0000000132C0: 02606154
	v_add_f32_e32 v48, v85, v48                                // 0000000132C4: 02606155
	v_add_f32_e32 v48, v86, v48                                // 0000000132C8: 02606156
	v_add_f32_e32 v48, v87, v48                                // 0000000132CC: 02606157
	v_add_f32_e32 v48, v88, v48                                // 0000000132D0: 02606158
	v_add_f32_e32 v48, v89, v48                                // 0000000132D4: 02606159
	v_add_f32_e32 v48, v90, v48                                // 0000000132D8: 0260615A
	v_add_f32_e32 v48, v91, v48                                // 0000000132DC: 0260615B
	v_add_f32_e32 v48, v92, v48                                // 0000000132E0: 0260615C
	v_add_f32_e32 v48, v93, v48                                // 0000000132E4: 0260615D
	v_add_f32_e32 v48, v94, v48                                // 0000000132E8: 0260615E
	v_add_f32_e32 v48, v95, v48                                // 0000000132EC: 0260615F
	s_nop 1                                                    // 0000000132F0: BF800001
	v_rcp_f32_e32 v48, v48                                     // 0000000132F4: 7E604530
	s_nop 1                                                    // 0000000132F8: BF800001
	v_mul_f32_e32 v232, v48, v232                              // 0000000132FC: 0BD1D130
	v_mul_f32_e32 v233, v48, v233                              // 000000013300: 0BD3D330
	v_mul_f32_e32 v234, v48, v234                              // 000000013304: 0BD5D530
	v_mul_f32_e32 v235, v48, v235                              // 000000013308: 0BD7D730
	v_mul_f32_e32 v236, v48, v236                              // 00000001330C: 0BD9D930
	v_mul_f32_e32 v237, v48, v237                              // 000000013310: 0BDBDB30
	v_mul_f32_e32 v238, v48, v238                              // 000000013314: 0BDDDD30
	v_mul_f32_e32 v239, v48, v239                              // 000000013318: 0BDFDF30
	v_cvt_pkrtz_f16_f32 v41, v232, v233                        // 00000001331C: D2960029 0003D3E8
	v_mov_b32_e32 v232, v41                                    // 000000013324: 7FD00329
	v_cvt_pkrtz_f16_f32 v41, v234, v235                        // 000000013328: D2960029 0003D7EA
	v_mov_b32_e32 v233, v41                                    // 000000013330: 7FD20329
	v_cvt_pkrtz_f16_f32 v41, v236, v237                        // 000000013334: D2960029 0003DBEC
	v_mov_b32_e32 v234, v41                                    // 00000001333C: 7FD40329
	v_cvt_pkrtz_f16_f32 v41, v238, v239                        // 000000013340: D2960029 0003DFEE
	v_mov_b32_e32 v235, v41                                    // 000000013348: 7FD60329
	s_nop 1                                                    // 00000001334C: BF800001
	v_lshrrev_b32_e32 v41, 4, v0                               // 000000013350: 20520084
	v_mul_i32_i24_e32 v45, 34, v41                             // 000000013354: 0C5A52A2
	v_and_b32_e32 v41, 15, v0                                  // 000000013358: 2652008F
	v_mul_i32_i24_e32 v42, 2, v41                              // 00000001335C: 0C545282
	v_add_u32_e32 v45, v42, v45                                // 000000013360: 685A5B2A
	s_mul_i32 s60, s7, 0x88                                    // 000000013364: 923CFF07 00000088
	v_add_u32_e32 v45, s60, v45                                // 00000001336C: 685A5A3C
	v_lshlrev_b32_e32 v45, 2, v45                              // 000000013370: 245A5A82
	ds_write_b64 v45, v[232:233] offset:41472                  // 000000013374: D89AA200 0000E82D
	ds_write_b64 v45, v[234:235] offset:43648                  // 00000001337C: D89AAA80 0000EA2D
	v_lshrrev_b32_e32 v41, 1, v0                               // 000000013384: 20520081
	v_mul_i32_i24_e32 v45, 34, v41                             // 000000013388: 0C5A52A2
	v_and_b32_e32 v42, 1, v0                                   // 00000001338C: 26540081
	v_add_u32_e32 v45, v42, v45                                // 000000013390: 685A5B2A
	s_mul_i32 s60, s7, 2                                       // 000000013394: 923C8207
	v_add_u32_e32 v45, s60, v45                                // 000000013398: 685A5A3C
	v_lshlrev_b32_e32 v45, 2, v45                              // 00000001339C: 245A5A82
	s_waitcnt lgkmcnt(0)                                       // 0000000133A0: BF8CC07F
	s_barrier                                                  // 0000000133A4: BF8A0000
	ds_read_b32 v232, v45 offset:41472                         // 0000000133A8: D86CA200 E800002D
	ds_read_b32 v233, v45 offset:41504                         // 0000000133B0: D86CA220 E900002D
	ds_read_b32 v234, v45 offset:41536                         // 0000000133B8: D86CA240 EA00002D
	ds_read_b32 v235, v45 offset:41568                         // 0000000133C0: D86CA260 EB00002D
	s_mul_i32 s60, s7, 0x100                                   // 0000000133C8: 923CFF07 00000100
	v_lshlrev_b32_e32 v41, 2, v0                               // 0000000133D0: 24520082
	v_add_u32_e64 v41, v41, s60                                // 0000000133D4: D1340029 00007929
	s_waitcnt lgkmcnt(0)                                       // 0000000133DC: BF8CC07F
	buffer_store_dword v232, v41, s[8:11], 0 offen             // 0000000133E0: E0701000 8002E829
	buffer_store_dword v233, v41, s[8:11], 0 offen offset:1024 // 0000000133E8: E0701400 8002E929
	s_add_u32 s8, s75, s8                                      // 0000000133F0: 8008084B
	s_addc_u32 s9, 0, s9                                       // 0000000133F4: 82090980
	buffer_store_dword v234, v41, s[8:11], 0 offen             // 0000000133F8: E0701000 8002EA29
	buffer_store_dword v235, v41, s[8:11], 0 offen offset:1024 // 000000013400: E0701400 8002EB29
	s_add_u32 s8, s75, s8                                      // 000000013408: 8008084B
	s_addc_u32 s9, 0, s9                                       // 00000001340C: 82090980
	s_branch label_45A8                                        // 000000013410: BF820123

0000000000013414 <label_4485>:
	v_mul_f32_e32 v224, v63, v224                              // 000000013414: 0BC1C13F
	v_mul_f32_e32 v225, v63, v225                              // 000000013418: 0BC3C33F
	v_mul_f32_e32 v226, v63, v226                              // 00000001341C: 0BC5C53F
	v_mul_f32_e32 v227, v63, v227                              // 000000013420: 0BC7C73F
	v_mul_f32_e32 v228, v63, v228                              // 000000013424: 0BC9C93F
	v_mul_f32_e32 v229, v63, v229                              // 000000013428: 0BCBCB3F
	v_mul_f32_e32 v230, v63, v230                              // 00000001342C: 0BCDCD3F
	v_mul_f32_e32 v231, v63, v231                              // 000000013430: 0BCFCF3F
	v_mul_f32_e32 v192, v58, v192                              // 000000013434: 0B81813A
	v_mul_f32_e32 v193, v58, v193                              // 000000013438: 0B83833A
	v_mul_f32_e32 v194, v58, v194                              // 00000001343C: 0B85853A
	v_mul_f32_e32 v195, v58, v195                              // 000000013440: 0B87873A
	v_mul_f32_e32 v196, v58, v196                              // 000000013444: 0B89893A
	v_mul_f32_e32 v197, v58, v197                              // 000000013448: 0B8B8B3A
	v_mul_f32_e32 v198, v58, v198                              // 00000001344C: 0B8D8D3A
	v_mul_f32_e32 v199, v58, v199                              // 000000013450: 0B8F8F3A
	v_add_f32_e32 v224, v224, v192                             // 000000013454: 03C181E0
	v_add_f32_e32 v225, v225, v193                             // 000000013458: 03C383E1
	v_add_f32_e32 v226, v226, v194                             // 00000001345C: 03C585E2
	v_add_f32_e32 v227, v227, v195                             // 000000013460: 03C787E3
	v_add_f32_e32 v228, v228, v196                             // 000000013464: 03C989E4
	v_add_f32_e32 v229, v229, v197                             // 000000013468: 03CB8BE5
	v_add_f32_e32 v230, v230, v198                             // 00000001346C: 03CD8DE6
	v_add_f32_e32 v231, v231, v199                             // 000000013470: 03CF8FE7
	ds_write_b32 v11, v47 offset:16896                         // 000000013474: D81A4200 00002F0B
	s_waitcnt lgkmcnt(0)                                       // 00000001347C: BF8CC07F
	s_barrier                                                  // 000000013480: BF8A0000
	ds_read_b32 v80, v10 offset:16896                          // 000000013484: D86C4200 5000000A
	ds_read_b32 v81, v10 offset:16960                          // 00000001348C: D86C4240 5100000A
	ds_read_b32 v82, v10 offset:17024                          // 000000013494: D86C4280 5200000A
	ds_read_b32 v83, v10 offset:17088                          // 00000001349C: D86C42C0 5300000A
	ds_read_b32 v84, v10 offset:17152                          // 0000000134A4: D86C4300 5400000A
	ds_read_b32 v85, v10 offset:17216                          // 0000000134AC: D86C4340 5500000A
	ds_read_b32 v86, v10 offset:17280                          // 0000000134B4: D86C4380 5600000A
	ds_read_b32 v87, v10 offset:17344                          // 0000000134BC: D86C43C0 5700000A
	ds_read_b32 v88, v10 offset:17408                          // 0000000134C4: D86C4400 5800000A
	ds_read_b32 v89, v10 offset:17472                          // 0000000134CC: D86C4440 5900000A
	ds_read_b32 v90, v10 offset:17536                          // 0000000134D4: D86C4480 5A00000A
	ds_read_b32 v91, v10 offset:17600                          // 0000000134DC: D86C44C0 5B00000A
	ds_read_b32 v92, v10 offset:17664                          // 0000000134E4: D86C4500 5C00000A
	ds_read_b32 v93, v10 offset:17728                          // 0000000134EC: D86C4540 5D00000A
	ds_read_b32 v94, v10 offset:17792                          // 0000000134F4: D86C4580 5E00000A
	ds_read_b32 v95, v10 offset:17856                          // 0000000134FC: D86C45C0 5F00000A
	s_waitcnt lgkmcnt(0)                                       // 000000013504: BF8CC07F
	v_mov_b32_e32 v47, 0                                       // 000000013508: 7E5E0280
	v_add_f32_e32 v47, v80, v47                                // 00000001350C: 025E5F50
	v_add_f32_e32 v47, v81, v47                                // 000000013510: 025E5F51
	v_add_f32_e32 v47, v82, v47                                // 000000013514: 025E5F52
	v_add_f32_e32 v47, v83, v47                                // 000000013518: 025E5F53
	v_add_f32_e32 v47, v84, v47                                // 00000001351C: 025E5F54
	v_add_f32_e32 v47, v85, v47                                // 000000013520: 025E5F55
	v_add_f32_e32 v47, v86, v47                                // 000000013524: 025E5F56
	v_add_f32_e32 v47, v87, v47                                // 000000013528: 025E5F57
	v_add_f32_e32 v47, v88, v47                                // 00000001352C: 025E5F58
	v_add_f32_e32 v47, v89, v47                                // 000000013530: 025E5F59
	v_add_f32_e32 v47, v90, v47                                // 000000013534: 025E5F5A
	v_add_f32_e32 v47, v91, v47                                // 000000013538: 025E5F5B
	v_add_f32_e32 v47, v92, v47                                // 00000001353C: 025E5F5C
	v_add_f32_e32 v47, v93, v47                                // 000000013540: 025E5F5D
	v_add_f32_e32 v47, v94, v47                                // 000000013544: 025E5F5E
	v_add_f32_e32 v47, v95, v47                                // 000000013548: 025E5F5F
	s_nop 1                                                    // 00000001354C: BF800001
	v_rcp_f32_e32 v47, v47                                     // 000000013550: 7E5E452F
	s_nop 1                                                    // 000000013554: BF800001
	v_mul_f32_e32 v224, v47, v224                              // 000000013558: 0BC1C12F
	v_mul_f32_e32 v225, v47, v225                              // 00000001355C: 0BC3C32F
	v_mul_f32_e32 v226, v47, v226                              // 000000013560: 0BC5C52F
	v_mul_f32_e32 v227, v47, v227                              // 000000013564: 0BC7C72F
	v_mul_f32_e32 v228, v47, v228                              // 000000013568: 0BC9C92F
	v_mul_f32_e32 v229, v47, v229                              // 00000001356C: 0BCBCB2F
	v_mul_f32_e32 v230, v47, v230                              // 000000013570: 0BCDCD2F
	v_mul_f32_e32 v231, v47, v231                              // 000000013574: 0BCFCF2F
	v_cvt_pkrtz_f16_f32 v41, v224, v225                        // 000000013578: D2960029 0003C3E0
	v_mov_b32_e32 v224, v41                                    // 000000013580: 7FC00329
	v_cvt_pkrtz_f16_f32 v41, v226, v227                        // 000000013584: D2960029 0003C7E2
	v_mov_b32_e32 v225, v41                                    // 00000001358C: 7FC20329
	v_cvt_pkrtz_f16_f32 v41, v228, v229                        // 000000013590: D2960029 0003CBE4
	v_mov_b32_e32 v226, v41                                    // 000000013598: 7FC40329
	v_cvt_pkrtz_f16_f32 v41, v230, v231                        // 00000001359C: D2960029 0003CFE6
	v_mov_b32_e32 v227, v41                                    // 0000000135A4: 7FC60329
	s_nop 1                                                    // 0000000135A8: BF800001
	v_lshrrev_b32_e32 v41, 4, v0                               // 0000000135AC: 20520084
	v_mul_i32_i24_e32 v45, 34, v41                             // 0000000135B0: 0C5A52A2
	v_and_b32_e32 v41, 15, v0                                  // 0000000135B4: 2652008F
	v_mul_i32_i24_e32 v42, 2, v41                              // 0000000135B8: 0C545282
	v_add_u32_e32 v45, v42, v45                                // 0000000135BC: 685A5B2A
	s_mul_i32 s60, s7, 0x88                                    // 0000000135C0: 923CFF07 00000088
	v_add_u32_e32 v45, s60, v45                                // 0000000135C8: 685A5A3C
	v_lshlrev_b32_e32 v45, 2, v45                              // 0000000135CC: 245A5A82
	ds_write_b64 v45, v[224:225] offset:41472                  // 0000000135D0: D89AA200 0000E02D
	ds_write_b64 v45, v[226:227] offset:43648                  // 0000000135D8: D89AAA80 0000E22D
	v_lshrrev_b32_e32 v41, 1, v0                               // 0000000135E0: 20520081
	v_mul_i32_i24_e32 v45, 34, v41                             // 0000000135E4: 0C5A52A2
	v_and_b32_e32 v42, 1, v0                                   // 0000000135E8: 26540081
	v_add_u32_e32 v45, v42, v45                                // 0000000135EC: 685A5B2A
	s_mul_i32 s60, s7, 2                                       // 0000000135F0: 923C8207
	v_add_u32_e32 v45, s60, v45                                // 0000000135F4: 685A5A3C
	v_lshlrev_b32_e32 v45, 2, v45                              // 0000000135F8: 245A5A82
	s_waitcnt lgkmcnt(0)                                       // 0000000135FC: BF8CC07F
	s_barrier                                                  // 000000013600: BF8A0000
	ds_read_b32 v224, v45 offset:41472                         // 000000013604: D86CA200 E000002D
	ds_read_b32 v225, v45 offset:41504                         // 00000001360C: D86CA220 E100002D
	ds_read_b32 v226, v45 offset:41536                         // 000000013614: D86CA240 E200002D
	ds_read_b32 v227, v45 offset:41568                         // 00000001361C: D86CA260 E300002D
	s_mul_i32 s60, s7, 0x100                                   // 000000013624: 923CFF07 00000100
	v_lshlrev_b32_e32 v41, 2, v0                               // 00000001362C: 24520082
	v_add_u32_e64 v41, v41, s60                                // 000000013630: D1340029 00007929
	s_waitcnt lgkmcnt(0)                                       // 000000013638: BF8CC07F
	buffer_store_dword v224, v41, s[8:11], 0 offen             // 00000001363C: E0701000 8002E029
	buffer_store_dword v225, v41, s[8:11], 0 offen offset:1024 // 000000013644: E0701400 8002E129
	s_add_u32 s8, s75, s8                                      // 00000001364C: 8008084B
	s_addc_u32 s9, 0, s9                                       // 000000013650: 82090980
	buffer_store_dword v226, v41, s[8:11], 0 offen             // 000000013654: E0701000 8002E229
	buffer_store_dword v227, v41, s[8:11], 0 offen offset:1024 // 00000001365C: E0701400 8002E329
	s_add_u32 s8, s75, s8                                      // 000000013664: 8008084B
	s_addc_u32 s9, 0, s9                                       // 000000013668: 82090980
	v_mul_f32_e32 v232, v64, v232                              // 00000001366C: 0BD1D140
	v_mul_f32_e32 v233, v64, v233                              // 000000013670: 0BD3D340
	v_mul_f32_e32 v234, v64, v234                              // 000000013674: 0BD5D540
	v_mul_f32_e32 v235, v64, v235                              // 000000013678: 0BD7D740
	v_mul_f32_e32 v236, v64, v236                              // 00000001367C: 0BD9D940
	v_mul_f32_e32 v237, v64, v237                              // 000000013680: 0BDBDB40
	v_mul_f32_e32 v238, v64, v238                              // 000000013684: 0BDDDD40
	v_mul_f32_e32 v239, v64, v239                              // 000000013688: 0BDFDF40
	v_mul_f32_e32 v200, v59, v200                              // 00000001368C: 0B91913B
	v_mul_f32_e32 v201, v59, v201                              // 000000013690: 0B93933B
	v_mul_f32_e32 v202, v59, v202                              // 000000013694: 0B95953B
	v_mul_f32_e32 v203, v59, v203                              // 000000013698: 0B97973B
	v_mul_f32_e32 v204, v59, v204                              // 00000001369C: 0B99993B
	v_mul_f32_e32 v205, v59, v205                              // 0000000136A0: 0B9B9B3B
	v_mul_f32_e32 v206, v59, v206                              // 0000000136A4: 0B9D9D3B
	v_mul_f32_e32 v207, v59, v207                              // 0000000136A8: 0B9F9F3B
	v_add_f32_e32 v232, v232, v200                             // 0000000136AC: 03D191E8
	v_add_f32_e32 v233, v233, v201                             // 0000000136B0: 03D393E9
	v_add_f32_e32 v234, v234, v202                             // 0000000136B4: 03D595EA
	v_add_f32_e32 v235, v235, v203                             // 0000000136B8: 03D797EB
	v_add_f32_e32 v236, v236, v204                             // 0000000136BC: 03D999EC
	v_add_f32_e32 v237, v237, v205                             // 0000000136C0: 03DB9BED
	v_add_f32_e32 v238, v238, v206                             // 0000000136C4: 03DD9DEE
	v_add_f32_e32 v239, v239, v207                             // 0000000136C8: 03DF9FEF
	ds_write_b32 v11, v48 offset:16896                         // 0000000136CC: D81A4200 0000300B
	s_waitcnt lgkmcnt(0)                                       // 0000000136D4: BF8CC07F
	s_barrier                                                  // 0000000136D8: BF8A0000
	ds_read_b32 v80, v10 offset:16896                          // 0000000136DC: D86C4200 5000000A
	ds_read_b32 v81, v10 offset:16960                          // 0000000136E4: D86C4240 5100000A
	ds_read_b32 v82, v10 offset:17024                          // 0000000136EC: D86C4280 5200000A
	ds_read_b32 v83, v10 offset:17088                          // 0000000136F4: D86C42C0 5300000A
	ds_read_b32 v84, v10 offset:17152                          // 0000000136FC: D86C4300 5400000A
	ds_read_b32 v85, v10 offset:17216                          // 000000013704: D86C4340 5500000A
	ds_read_b32 v86, v10 offset:17280                          // 00000001370C: D86C4380 5600000A
	ds_read_b32 v87, v10 offset:17344                          // 000000013714: D86C43C0 5700000A
	ds_read_b32 v88, v10 offset:17408                          // 00000001371C: D86C4400 5800000A
	ds_read_b32 v89, v10 offset:17472                          // 000000013724: D86C4440 5900000A
	ds_read_b32 v90, v10 offset:17536                          // 00000001372C: D86C4480 5A00000A
	ds_read_b32 v91, v10 offset:17600                          // 000000013734: D86C44C0 5B00000A
	ds_read_b32 v92, v10 offset:17664                          // 00000001373C: D86C4500 5C00000A
	ds_read_b32 v93, v10 offset:17728                          // 000000013744: D86C4540 5D00000A
	ds_read_b32 v94, v10 offset:17792                          // 00000001374C: D86C4580 5E00000A
	ds_read_b32 v95, v10 offset:17856                          // 000000013754: D86C45C0 5F00000A
	s_waitcnt lgkmcnt(0)                                       // 00000001375C: BF8CC07F
	v_mov_b32_e32 v48, 0                                       // 000000013760: 7E600280
	v_add_f32_e32 v48, v80, v48                                // 000000013764: 02606150
	v_add_f32_e32 v48, v81, v48                                // 000000013768: 02606151
	v_add_f32_e32 v48, v82, v48                                // 00000001376C: 02606152
	v_add_f32_e32 v48, v83, v48                                // 000000013770: 02606153
	v_add_f32_e32 v48, v84, v48                                // 000000013774: 02606154
	;; [unrolled: 1-line block ×3, first 2 shown]
	v_add_f32_e32 v48, v86, v48                                // 00000001377C: 02606156
	v_add_f32_e32 v48, v87, v48                                // 000000013780: 02606157
	v_add_f32_e32 v48, v88, v48                                // 000000013784: 02606158
	;; [unrolled: 1-line block ×3, first 2 shown]
	v_add_f32_e32 v48, v90, v48                                // 00000001378C: 0260615A
	v_add_f32_e32 v48, v91, v48                                // 000000013790: 0260615B
	v_add_f32_e32 v48, v92, v48                                // 000000013794: 0260615C
	v_add_f32_e32 v48, v93, v48                                // 000000013798: 0260615D
	v_add_f32_e32 v48, v94, v48                                // 00000001379C: 0260615E
	v_add_f32_e32 v48, v95, v48                                // 0000000137A0: 0260615F
	s_nop 1                                                    // 0000000137A4: BF800001
	v_rcp_f32_e32 v48, v48                                     // 0000000137A8: 7E604530
	s_nop 1                                                    // 0000000137AC: BF800001
	v_mul_f32_e32 v232, v48, v232                              // 0000000137B0: 0BD1D130
	v_mul_f32_e32 v233, v48, v233                              // 0000000137B4: 0BD3D330
	v_mul_f32_e32 v234, v48, v234                              // 0000000137B8: 0BD5D530
	v_mul_f32_e32 v235, v48, v235                              // 0000000137BC: 0BD7D730
	v_mul_f32_e32 v236, v48, v236                              // 0000000137C0: 0BD9D930
	v_mul_f32_e32 v237, v48, v237                              // 0000000137C4: 0BDBDB30
	v_mul_f32_e32 v238, v48, v238                              // 0000000137C8: 0BDDDD30
	v_mul_f32_e32 v239, v48, v239                              // 0000000137CC: 0BDFDF30
	v_cvt_pkrtz_f16_f32 v41, v232, v233                        // 0000000137D0: D2960029 0003D3E8
	v_mov_b32_e32 v232, v41                                    // 0000000137D8: 7FD00329
	v_cvt_pkrtz_f16_f32 v41, v234, v235                        // 0000000137DC: D2960029 0003D7EA
	v_mov_b32_e32 v233, v41                                    // 0000000137E4: 7FD20329
	v_cvt_pkrtz_f16_f32 v41, v236, v237                        // 0000000137E8: D2960029 0003DBEC
	v_mov_b32_e32 v234, v41                                    // 0000000137F0: 7FD40329
	v_cvt_pkrtz_f16_f32 v41, v238, v239                        // 0000000137F4: D2960029 0003DFEE
	v_mov_b32_e32 v235, v41                                    // 0000000137FC: 7FD60329
	s_nop 1                                                    // 000000013800: BF800001
	v_lshrrev_b32_e32 v41, 4, v0                               // 000000013804: 20520084
	v_mul_i32_i24_e32 v45, 34, v41                             // 000000013808: 0C5A52A2
	v_and_b32_e32 v41, 15, v0                                  // 00000001380C: 2652008F
	v_mul_i32_i24_e32 v42, 2, v41                              // 000000013810: 0C545282
	v_add_u32_e32 v45, v42, v45                                // 000000013814: 685A5B2A
	s_mul_i32 s60, s7, 0x88                                    // 000000013818: 923CFF07 00000088
	v_add_u32_e32 v45, s60, v45                                // 000000013820: 685A5A3C
	v_lshlrev_b32_e32 v45, 2, v45                              // 000000013824: 245A5A82
	ds_write_b64 v45, v[232:233] offset:41472                  // 000000013828: D89AA200 0000E82D
	ds_write_b64 v45, v[234:235] offset:43648                  // 000000013830: D89AAA80 0000EA2D
	v_lshrrev_b32_e32 v41, 1, v0                               // 000000013838: 20520081
	v_mul_i32_i24_e32 v45, 34, v41                             // 00000001383C: 0C5A52A2
	v_and_b32_e32 v42, 1, v0                                   // 000000013840: 26540081
	v_add_u32_e32 v45, v42, v45                                // 000000013844: 685A5B2A
	s_mul_i32 s60, s7, 2                                       // 000000013848: 923C8207
	v_add_u32_e32 v45, s60, v45                                // 00000001384C: 685A5A3C
	v_lshlrev_b32_e32 v45, 2, v45                              // 000000013850: 245A5A82
	s_waitcnt lgkmcnt(0)                                       // 000000013854: BF8CC07F
	s_barrier                                                  // 000000013858: BF8A0000
	ds_read_b32 v232, v45 offset:41472                         // 00000001385C: D86CA200 E800002D
	ds_read_b32 v233, v45 offset:41504                         // 000000013864: D86CA220 E900002D
	s_mul_i32 s60, s7, 0x100                                   // 00000001386C: 923CFF07 00000100
	v_lshlrev_b32_e32 v41, 2, v0                               // 000000013874: 24520082
	v_add_u32_e64 v41, v41, s60                                // 000000013878: D1340029 00007929
	s_waitcnt lgkmcnt(0)                                       // 000000013880: BF8CC07F
	buffer_store_dword v232, v41, s[8:11], 0 offen             // 000000013884: E0701000 8002E829
	buffer_store_dword v233, v41, s[8:11], 0 offen offset:1024 // 00000001388C: E0701400 8002E929
	s_add_u32 s8, s75, s8                                      // 000000013894: 8008084B
	s_addc_u32 s9, 0, s9                                       // 000000013898: 82090980
	s_branch label_45A8                                        // 00000001389C: BF820000

00000000000138a0 <label_45A8>:
	s_waitcnt vmcnt(0) expcnt(0) lgkmcnt(0)                    // 0000000138A0: BF8C0000
	s_endpgm                                                   // 0000000138A4: BF810000
